;; amdgpu-corpus repo=ROCm/rocFFT kind=compiled arch=gfx1030 opt=O3
	.text
	.amdgcn_target "amdgcn-amd-amdhsa--gfx1030"
	.amdhsa_code_object_version 6
	.protected	bluestein_single_back_len242_dim1_dp_op_CI_CI ; -- Begin function bluestein_single_back_len242_dim1_dp_op_CI_CI
	.globl	bluestein_single_back_len242_dim1_dp_op_CI_CI
	.p2align	8
	.type	bluestein_single_back_len242_dim1_dp_op_CI_CI,@function
bluestein_single_back_len242_dim1_dp_op_CI_CI: ; @bluestein_single_back_len242_dim1_dp_op_CI_CI
; %bb.0:
	s_load_dwordx4 s[12:15], s[4:5], 0x28
	v_mul_u32_u24_e32 v1, 0xba3, v0
	v_lshrrev_b32_e32 v1, 16, v1
	v_mad_u64_u32 v[156:157], null, s6, 5, v[1:2]
	v_mov_b32_e32 v157, 0
                                        ; kill: def $vgpr2 killed $sgpr0 killed $exec
	s_mov_b32 s0, exec_lo
	s_waitcnt lgkmcnt(0)
	v_cmpx_gt_u64_e64 s[12:13], v[156:157]
	s_cbranch_execz .LBB0_10
; %bb.1:
	s_clause 0x1
	s_load_dwordx4 s[8:11], s[4:5], 0x18
	s_load_dwordx4 s[0:3], s[4:5], 0x0
	v_mul_lo_u16 v1, v1, 22
	s_mov_b32 s28, 0xf8bb580b
	s_mov_b32 s24, 0xfd768dbf
	;; [unrolled: 1-line block ×4, first 2 shown]
	v_sub_nc_u16 v72, v0, v1
	s_mov_b32 s12, 0x8eee2c13
	s_mov_b32 s25, 0xbfd207e7
	;; [unrolled: 1-line block ×4, first 2 shown]
	v_and_b32_e32 v173, 0xffff, v72
	s_mov_b32 s21, 0xbfe4f49e
	s_mov_b32 s23, 0xbfeeb42a
	;; [unrolled: 1-line block ×4, first 2 shown]
	v_lshlrev_b32_e32 v44, 4, v173
	s_mov_b32 s27, 0x3fe14ced
	s_mov_b32 s34, s24
	s_waitcnt lgkmcnt(0)
	s_load_dwordx4 s[16:19], s[8:9], 0x0
	s_clause 0x2
	global_load_dwordx4 v[32:35], v44, s[0:1]
	global_load_dwordx4 v[4:7], v44, s[0:1] offset:352
	global_load_dwordx4 v[0:3], v44, s[0:1] offset:704
	v_add_co_u32 v152, s6, s0, v44
	v_add_co_ci_u32_e64 v153, null, s1, 0, s6
	global_load_dwordx4 v[24:27], v44, s[0:1] offset:1056
	v_add_co_u32 v132, vcc_lo, 0x800, v152
	v_add_co_ci_u32_e32 v133, vcc_lo, 0, v153, vcc_lo
	s_mov_b32 s26, s28
	v_mul_lo_u16 v131, v72, 11
	s_load_dwordx2 s[4:5], s[4:5], 0x38
	s_waitcnt lgkmcnt(0)
	v_mad_u64_u32 v[16:17], null, s18, v156, 0
	v_mad_u64_u32 v[28:29], null, s16, v173, 0
	s_mul_i32 s6, s16, 0x160
	v_mov_b32_e32 v8, v17
	v_mov_b32_e32 v9, v29
	v_mad_u64_u32 v[10:11], null, s19, v156, v[8:9]
	s_mov_b32 s18, 0xbb3a28a1
	s_mov_b32 s19, 0xbfe82f19
	v_mad_u64_u32 v[18:19], null, s17, v173, v[9:10]
	v_mov_b32_e32 v17, v10
	s_clause 0x2
	global_load_dwordx4 v[20:23], v44, s[0:1] offset:1408
	global_load_dwordx4 v[12:15], v44, s[0:1] offset:1760
	global_load_dwordx4 v[8:11], v[132:133], off offset:64
	s_mul_i32 s0, s17, 0x160
	s_mul_hi_u32 s1, s16, 0x160
	s_mov_b32 s16, 0x43842ef
	v_lshlrev_b64 v[30:31], 4, v[16:17]
	v_mov_b32_e32 v29, v18
	s_add_i32 s1, s1, s0
	global_load_dwordx4 v[16:19], v[132:133], off offset:416
	s_mov_b32 s17, 0xbfefac9e
	s_mov_b32 s30, s16
	v_lshlrev_b64 v[28:29], 4, v[28:29]
	v_add_co_u32 v30, vcc_lo, s14, v30
	v_add_co_ci_u32_e32 v31, vcc_lo, s15, v31, vcc_lo
	s_mov_b32 s14, 0x640f44db
	v_add_co_u32 v36, vcc_lo, v30, v28
	v_add_co_ci_u32_e32 v37, vcc_lo, v31, v29, vcc_lo
	global_load_dwordx4 v[28:31], v[132:133], off offset:768
	v_add_co_u32 v38, vcc_lo, v36, s6
	v_add_co_ci_u32_e32 v39, vcc_lo, s1, v37, vcc_lo
	global_load_dwordx4 v[45:48], v[36:37], off
	v_add_co_u32 v40, vcc_lo, v38, s6
	global_load_dwordx4 v[49:52], v[38:39], off
	v_add_co_ci_u32_e32 v41, vcc_lo, s1, v39, vcc_lo
	v_add_co_u32 v36, vcc_lo, v40, s6
	s_mov_b32 s15, 0xbfc2375f
	v_add_co_ci_u32_e32 v37, vcc_lo, s1, v41, vcc_lo
	v_add_co_u32 v38, vcc_lo, v36, s6
	global_load_dwordx4 v[53:56], v[40:41], off
	v_add_co_ci_u32_e32 v39, vcc_lo, s1, v37, vcc_lo
	v_add_co_u32 v40, vcc_lo, v38, s6
	s_clause 0x1
	global_load_dwordx4 v[57:60], v[36:37], off
	global_load_dwordx4 v[61:64], v[38:39], off
	v_add_co_ci_u32_e32 v41, vcc_lo, s1, v39, vcc_lo
	v_add_co_u32 v36, vcc_lo, v40, s6
	v_add_co_ci_u32_e32 v37, vcc_lo, s1, v41, vcc_lo
	v_add_co_u32 v38, vcc_lo, v36, s6
	global_load_dwordx4 v[65:68], v[40:41], off
	v_add_co_ci_u32_e32 v39, vcc_lo, s1, v37, vcc_lo
	v_add_co_u32 v40, vcc_lo, v38, s6
	global_load_dwordx4 v[73:76], v[36:37], off
	;; [unrolled: 3-line block ×3, first 2 shown]
	v_add_co_ci_u32_e32 v43, vcc_lo, s1, v41, vcc_lo
	v_add_co_u32 v69, vcc_lo, v42, s6
	s_mov_b32 s6, 0xd9c712b6
	v_add_co_ci_u32_e32 v70, vcc_lo, s1, v43, vcc_lo
	global_load_dwordx4 v[81:84], v[40:41], off
	global_load_dwordx4 v[36:39], v[132:133], off offset:1120
	global_load_dwordx4 v[85:88], v[42:43], off
	global_load_dwordx4 v[40:43], v[132:133], off offset:1472
	global_load_dwordx4 v[89:92], v[69:70], off
	v_mul_hi_u32 v69, 0xcccccccd, v156
	s_load_dwordx4 s[8:11], s[10:11], 0x0
	s_mov_b32 s0, 0x8764f0ba
	s_mov_b32 s1, 0x3feaeb8c
	s_mov_b32 s7, 0x3fda9628
	v_cmp_gt_u16_e32 vcc_lo, 11, v72
	v_lshrrev_b32_e32 v69, 2, v69
	v_lshl_add_u32 v69, v69, 2, v69
	v_sub_nc_u32_e32 v69, v156, v69
	v_mul_u32_u24_e32 v71, 0xf2, v69
	v_lshlrev_b32_e32 v175, 4, v71
	v_add_nc_u32_e32 v174, v44, v175
	s_waitcnt vmcnt(12)
	v_mul_f64 v[69:70], v[47:48], v[34:35]
	v_mul_f64 v[93:94], v[45:46], v[34:35]
	s_waitcnt vmcnt(11)
	v_mul_f64 v[95:96], v[51:52], v[6:7]
	v_mul_f64 v[97:98], v[49:50], v[6:7]
	s_waitcnt vmcnt(10)
	v_mul_f64 v[99:100], v[55:56], v[2:3]
	v_mul_f64 v[101:102], v[53:54], v[2:3]
	s_waitcnt vmcnt(9)
	v_mul_f64 v[103:104], v[59:60], v[26:27]
	v_mul_f64 v[105:106], v[57:58], v[26:27]
	s_waitcnt vmcnt(8)
	v_mul_f64 v[107:108], v[63:64], v[22:23]
	v_mul_f64 v[109:110], v[61:62], v[22:23]
	v_fma_f64 v[45:46], v[45:46], v[32:33], v[69:70]
	v_fma_f64 v[47:48], v[47:48], v[32:33], -v[93:94]
	v_fma_f64 v[49:50], v[49:50], v[4:5], v[95:96]
	v_fma_f64 v[51:52], v[51:52], v[4:5], -v[97:98]
	s_waitcnt vmcnt(7)
	v_mul_f64 v[111:112], v[67:68], v[14:15]
	v_mul_f64 v[113:114], v[65:66], v[14:15]
	s_waitcnt vmcnt(6)
	v_mul_f64 v[115:116], v[75:76], v[10:11]
	v_mul_f64 v[117:118], v[73:74], v[10:11]
	v_fma_f64 v[53:54], v[53:54], v[0:1], v[99:100]
	v_fma_f64 v[55:56], v[55:56], v[0:1], -v[101:102]
	s_waitcnt vmcnt(5)
	v_mul_f64 v[119:120], v[79:80], v[18:19]
	v_mul_f64 v[121:122], v[77:78], v[18:19]
	v_fma_f64 v[57:58], v[57:58], v[24:25], v[103:104]
	v_fma_f64 v[59:60], v[59:60], v[24:25], -v[105:106]
	s_waitcnt vmcnt(4)
	v_mul_f64 v[123:124], v[83:84], v[30:31]
	v_mul_f64 v[125:126], v[81:82], v[30:31]
	s_waitcnt vmcnt(2)
	v_mul_f64 v[127:128], v[87:88], v[38:39]
	v_mul_f64 v[129:130], v[85:86], v[38:39]
	;; [unrolled: 3-line block ×3, first 2 shown]
	v_fma_f64 v[61:62], v[61:62], v[20:21], v[107:108]
	v_fma_f64 v[63:64], v[63:64], v[20:21], -v[109:110]
	v_fma_f64 v[65:66], v[65:66], v[12:13], v[111:112]
	v_fma_f64 v[67:68], v[67:68], v[12:13], -v[113:114]
	;; [unrolled: 2-line block ×7, first 2 shown]
	ds_write_b128 v174, v[45:48]
	ds_write_b128 v174, v[49:52] offset:352
	ds_write_b128 v174, v[53:56] offset:704
	;; [unrolled: 1-line block ×10, first 2 shown]
	s_waitcnt lgkmcnt(0)
	s_barrier
	buffer_gl0_inv
	ds_read_b128 v[52:55], v174
	ds_read_b128 v[56:59], v174 offset:352
	ds_read_b128 v[60:63], v174 offset:704
	;; [unrolled: 1-line block ×6, first 2 shown]
	s_waitcnt lgkmcnt(5)
	v_add_f64 v[44:45], v[52:53], v[56:57]
	v_add_f64 v[46:47], v[54:55], v[58:59]
	s_waitcnt lgkmcnt(2)
	v_add_f64 v[101:102], v[60:61], v[48:49]
	v_add_f64 v[105:106], v[60:61], -v[48:49]
	v_add_f64 v[103:104], v[62:63], v[50:51]
	s_waitcnt lgkmcnt(1)
	v_add_f64 v[109:110], v[66:67], v[70:71]
	v_add_f64 v[107:108], v[64:65], v[68:69]
	;; [unrolled: 1-line block ×4, first 2 shown]
	ds_read_b128 v[44:47], v174 offset:3520
	v_add_f64 v[62:63], v[62:63], -v[50:51]
	v_mul_f64 v[140:141], v[105:106], s[12:13]
	v_mul_f64 v[142:143], v[105:106], s[18:19]
	;; [unrolled: 1-line block ×5, first 2 shown]
	v_add_f64 v[89:90], v[73:74], v[64:65]
	v_add_f64 v[91:92], v[75:76], v[66:67]
	ds_read_b128 v[73:76], v174 offset:1408
	ds_read_b128 v[81:84], v174 offset:1760
	;; [unrolled: 1-line block ×3, first 2 shown]
	s_waitcnt lgkmcnt(3)
	v_add_f64 v[93:94], v[58:59], -v[46:47]
	v_add_f64 v[95:96], v[56:57], -v[44:45]
	v_add_f64 v[97:98], v[56:57], v[44:45]
	v_add_f64 v[99:100], v[58:59], v[46:47]
	v_add_f64 v[66:67], v[66:67], -v[70:71]
	v_mul_f64 v[136:137], v[62:63], s[12:13]
	v_add_f64 v[64:65], v[64:65], -v[68:69]
	v_mul_f64 v[138:139], v[62:63], s[18:19]
	v_fma_f64 v[180:181], v[103:104], s[20:21], v[142:143]
	v_fma_f64 v[142:143], v[103:104], s[20:21], -v[142:143]
	v_fma_f64 v[182:183], v[103:104], s[22:23], v[144:145]
	v_fma_f64 v[144:145], v[103:104], s[22:23], -v[144:145]
	s_waitcnt lgkmcnt(0)
	s_barrier
	buffer_gl0_inv
	v_add_f64 v[89:90], v[89:90], v[73:74]
	v_add_f64 v[91:92], v[91:92], v[75:76]
	;; [unrolled: 1-line block ×4, first 2 shown]
	v_add_f64 v[58:59], v[81:82], -v[85:86]
	v_add_f64 v[115:116], v[83:84], -v[87:88]
	v_mul_f64 v[117:118], v[93:94], s[28:29]
	v_mul_f64 v[119:120], v[95:96], s[28:29]
	;; [unrolled: 1-line block ×10, first 2 shown]
	s_mov_b32 s13, 0x3fed1bb4
	v_add_f64 v[111:112], v[73:74], v[77:78]
	v_add_f64 v[113:114], v[75:76], v[79:80]
	v_add_f64 v[73:74], v[73:74], -v[77:78]
	v_add_f64 v[75:76], v[75:76], -v[79:80]
	v_mul_f64 v[148:149], v[66:67], s[16:17]
	v_add_f64 v[81:82], v[89:90], v[81:82]
	v_add_f64 v[83:84], v[91:92], v[83:84]
	v_mul_f64 v[89:90], v[62:63], s[34:35]
	v_mul_f64 v[91:92], v[62:63], s[30:31]
	;; [unrolled: 1-line block ×7, first 2 shown]
	v_fma_f64 v[159:160], v[97:98], s[0:1], -v[117:118]
	v_fma_f64 v[161:162], v[99:100], s[0:1], v[119:120]
	v_fma_f64 v[117:118], v[97:98], s[0:1], v[117:118]
	v_fma_f64 v[119:120], v[99:100], s[0:1], -v[119:120]
	v_fma_f64 v[163:164], v[97:98], s[6:7], -v[121:122]
	v_fma_f64 v[165:166], v[99:100], s[6:7], v[123:124]
	v_fma_f64 v[167:168], v[97:98], s[20:21], -v[129:130]
	v_fma_f64 v[169:170], v[99:100], s[20:21], v[134:135]
	v_fma_f64 v[129:130], v[97:98], s[20:21], v[129:130]
	v_fma_f64 v[134:135], v[99:100], s[20:21], -v[134:135]
	v_fma_f64 v[171:172], v[97:98], s[22:23], -v[93:94]
	v_fma_f64 v[93:94], v[97:98], s[22:23], v[93:94]
	v_fma_f64 v[176:177], v[101:102], s[20:21], -v[138:139]
	v_add_f64 v[81:82], v[81:82], v[85:86]
	v_add_f64 v[83:84], v[83:84], v[87:88]
	v_fma_f64 v[85:86], v[97:98], s[6:7], v[121:122]
	v_fma_f64 v[87:88], v[99:100], s[6:7], -v[123:124]
	v_fma_f64 v[121:122], v[97:98], s[14:15], -v[125:126]
	v_fma_f64 v[123:124], v[99:100], s[14:15], v[127:128]
	v_fma_f64 v[125:126], v[97:98], s[14:15], v[125:126]
	v_fma_f64 v[127:128], v[99:100], s[14:15], -v[127:128]
	v_fma_f64 v[97:98], v[99:100], s[22:23], v[95:96]
	v_fma_f64 v[95:96], v[99:100], s[22:23], -v[95:96]
	v_fma_f64 v[99:100], v[101:102], s[6:7], -v[136:137]
	v_fma_f64 v[136:137], v[101:102], s[6:7], v[136:137]
	v_fma_f64 v[138:139], v[101:102], s[20:21], v[138:139]
	v_fma_f64 v[178:179], v[101:102], s[22:23], -v[89:90]
	v_fma_f64 v[89:90], v[101:102], s[22:23], v[89:90]
	v_add_f64 v[159:160], v[52:53], v[159:160]
	v_add_f64 v[161:162], v[54:55], v[161:162]
	;; [unrolled: 1-line block ×9, first 2 shown]
	v_fma_f64 v[81:82], v[101:102], s[14:15], -v[91:92]
	v_fma_f64 v[83:84], v[101:102], s[14:15], v[91:92]
	v_fma_f64 v[91:92], v[101:102], s[0:1], -v[62:63]
	v_fma_f64 v[62:63], v[101:102], s[0:1], v[62:63]
	v_fma_f64 v[101:102], v[103:104], s[6:7], v[140:141]
	v_fma_f64 v[140:141], v[103:104], s[6:7], -v[140:141]
	v_add_f64 v[85:86], v[52:53], v[85:86]
	v_add_f64 v[87:88], v[54:55], v[87:88]
	;; [unrolled: 1-line block ×13, first 2 shown]
	v_fma_f64 v[184:185], v[107:108], s[20:21], -v[157:158]
	v_add_f64 v[52:53], v[77:78], v[68:69]
	v_add_f64 v[54:55], v[79:80], v[70:71]
	v_fma_f64 v[68:69], v[103:104], s[14:15], v[146:147]
	v_fma_f64 v[70:71], v[103:104], s[14:15], -v[146:147]
	v_fma_f64 v[77:78], v[103:104], s[0:1], v[105:106]
	v_fma_f64 v[79:80], v[103:104], s[0:1], -v[105:106]
	v_fma_f64 v[103:104], v[107:108], s[14:15], -v[148:149]
	v_fma_f64 v[105:106], v[107:108], s[14:15], v[148:149]
	v_fma_f64 v[146:147], v[107:108], s[22:23], -v[150:151]
	v_fma_f64 v[148:149], v[107:108], s[22:23], v[150:151]
	;; [unrolled: 2-line block ×3, first 2 shown]
	v_fma_f64 v[157:158], v[107:108], s[20:21], v[157:158]
	v_fma_f64 v[186:187], v[107:108], s[6:7], -v[66:67]
	v_fma_f64 v[66:67], v[107:108], s[6:7], v[66:67]
	v_mul_f64 v[107:108], v[64:65], s[16:17]
	v_mul_f64 v[188:189], v[64:65], s[34:35]
	;; [unrolled: 1-line block ×11, first 2 shown]
	v_add_f64 v[85:86], v[138:139], v[85:86]
	v_add_f64 v[89:90], v[89:90], v[125:126]
	;; [unrolled: 1-line block ×5, first 2 shown]
	v_mul_f64 v[127:128], v[115:116], s[24:25]
	v_mul_f64 v[129:130], v[115:116], s[26:27]
	;; [unrolled: 1-line block ×5, first 2 shown]
	v_add_f64 v[99:100], v[99:100], v[159:160]
	v_fma_f64 v[194:195], v[109:110], s[14:15], v[107:108]
	v_fma_f64 v[107:108], v[109:110], s[14:15], -v[107:108]
	v_fma_f64 v[196:197], v[109:110], s[22:23], v[188:189]
	v_fma_f64 v[188:189], v[109:110], s[22:23], -v[188:189]
	;; [unrolled: 2-line block ×5, first 2 shown]
	v_mul_f64 v[109:110], v[75:76], s[18:19]
	v_mul_f64 v[75:76], v[75:76], s[12:13]
	v_fma_f64 v[212:213], v[111:112], s[14:15], -v[204:205]
	v_fma_f64 v[204:205], v[111:112], s[14:15], v[204:205]
	v_fma_f64 v[214:215], v[111:112], s[0:1], -v[206:207]
	v_fma_f64 v[206:207], v[111:112], s[0:1], v[206:207]
	;; [unrolled: 2-line block ×3, first 2 shown]
	v_fma_f64 v[228:229], v[113:114], s[14:15], v[220:221]
	v_fma_f64 v[220:221], v[113:114], s[14:15], -v[220:221]
	v_fma_f64 v[230:231], v[113:114], s[0:1], v[222:223]
	v_fma_f64 v[222:223], v[113:114], s[0:1], -v[222:223]
	;; [unrolled: 2-line block ×3, first 2 shown]
	v_add_f64 v[101:102], v[101:102], v[161:162]
	v_add_f64 v[121:122], v[178:179], v[121:122]
	;; [unrolled: 1-line block ×7, first 2 shown]
	v_fma_f64 v[142:143], v[60:61], s[0:1], -v[129:130]
	v_fma_f64 v[210:211], v[111:112], s[20:21], -v[109:110]
	v_fma_f64 v[109:110], v[111:112], s[20:21], v[109:110]
	v_fma_f64 v[218:219], v[111:112], s[6:7], -v[75:76]
	v_fma_f64 v[75:76], v[111:112], s[6:7], v[75:76]
	v_mul_f64 v[111:112], v[73:74], s[18:19]
	v_mul_f64 v[73:74], v[73:74], s[12:13]
	v_fma_f64 v[129:130], v[60:61], s[0:1], v[129:130]
	v_fma_f64 v[144:145], v[60:61], s[20:21], -v[134:135]
	v_fma_f64 v[134:135], v[60:61], s[20:21], v[134:135]
	v_fma_f64 v[159:160], v[60:61], s[14:15], -v[138:139]
	;; [unrolled: 2-line block ×3, first 2 shown]
	v_fma_f64 v[115:116], v[60:61], s[6:7], v[115:116]
	v_add_f64 v[62:63], v[62:63], v[93:94]
	v_add_f64 v[93:94], v[194:195], v[101:102]
	v_add_f64 v[66:67], v[66:67], v[89:90]
	v_mul_f64 v[89:90], v[58:59], s[24:25]
	v_add_f64 v[81:82], v[150:151], v[81:82]
	v_add_f64 v[68:69], v[198:199], v[68:69]
	;; [unrolled: 1-line block ×9, first 2 shown]
	v_fma_f64 v[226:227], v[113:114], s[20:21], v[111:112]
	v_fma_f64 v[111:112], v[113:114], s[20:21], -v[111:112]
	v_fma_f64 v[234:235], v[113:114], s[6:7], v[73:74]
	v_fma_f64 v[73:74], v[113:114], s[6:7], -v[73:74]
	v_add_f64 v[113:114], v[136:137], v[117:118]
	v_add_f64 v[117:118], v[140:141], v[119:120]
	;; [unrolled: 1-line block ×4, first 2 shown]
	v_fma_f64 v[140:141], v[60:61], s[22:23], -v[127:128]
	v_fma_f64 v[127:128], v[60:61], s[22:23], v[127:128]
	v_add_f64 v[60:61], v[77:78], v[97:98]
	v_add_f64 v[77:78], v[79:80], v[95:96]
	;; [unrolled: 1-line block ×16, first 2 shown]
	v_mul_f64 v[107:108], v[58:59], s[26:27]
	v_mul_f64 v[113:114], v[58:59], s[18:19]
	;; [unrolled: 1-line block ×4, first 2 shown]
	v_add_f64 v[99:100], v[146:147], v[119:120]
	v_add_f64 v[101:102], v[196:197], v[136:137]
	;; [unrolled: 1-line block ×5, first 2 shown]
	v_fma_f64 v[119:120], v[56:57], s[22:23], v[89:90]
	v_fma_f64 v[89:90], v[56:57], s[22:23], -v[89:90]
	v_add_f64 v[62:63], v[75:76], v[62:63]
	v_add_f64 v[46:47], v[157:158], v[46:47]
	v_fma_f64 v[121:122], v[56:57], s[0:1], v[107:108]
	v_fma_f64 v[107:108], v[56:57], s[0:1], -v[107:108]
	v_fma_f64 v[123:124], v[56:57], s[20:21], v[113:114]
	v_fma_f64 v[113:114], v[56:57], s[20:21], -v[113:114]
	;; [unrolled: 2-line block ×4, first 2 shown]
	v_add_f64 v[56:57], v[210:211], v[79:80]
	v_add_f64 v[58:59], v[226:227], v[93:94]
	;; [unrolled: 1-line block ×32, first 2 shown]
	v_and_b32_e32 v89, 0xffff, v131
	v_lshl_add_u32 v176, v89, 4, v175
	ds_write_b128 v176, v[52:55] offset:16
	ds_write_b128 v176, v[56:59] offset:32
	;; [unrolled: 1-line block ×10, first 2 shown]
	ds_write_b128 v176, v[44:47]
	s_waitcnt lgkmcnt(0)
	s_barrier
	buffer_gl0_inv
	ds_read_b128 v[52:55], v174
	ds_read_b128 v[56:59], v174 offset:352
	ds_read_b128 v[76:79], v174 offset:2288
	;; [unrolled: 1-line block ×9, first 2 shown]
                                        ; implicit-def: $vgpr72_vgpr73
	s_and_saveexec_b32 s0, vcc_lo
	s_cbranch_execz .LBB0_3
; %bb.2:
	ds_read_b128 v[48:51], v174 offset:1760
	ds_read_b128 v[72:75], v174 offset:3696
.LBB0_3:
	s_or_b32 exec_lo, exec_lo, s0
	v_add_nc_u16 v46, v173, 22
	v_add_nc_u16 v47, v173, 44
	;; [unrolled: 1-line block ×5, first 2 shown]
	v_and_b32_e32 v80, 0xff, v46
	v_and_b32_e32 v82, 0xff, v47
	;; [unrolled: 1-line block ×5, first 2 shown]
	v_mul_lo_u16 v80, 0x75, v80
	v_mul_lo_u16 v82, 0x75, v82
	;; [unrolled: 1-line block ×5, first 2 shown]
	v_lshrrev_b16 v80, 8, v80
	v_lshrrev_b16 v82, 8, v82
	;; [unrolled: 1-line block ×5, first 2 shown]
	v_sub_nc_u16 v86, v46, v80
	v_sub_nc_u16 v87, v47, v82
	;; [unrolled: 1-line block ×4, first 2 shown]
	v_add_co_u32 v44, s0, v173, -11
	v_lshrrev_b16 v86, 1, v86
	v_lshrrev_b16 v87, 1, v87
	v_add_co_ci_u32_e64 v45, null, 0, -1, s0
	v_cndmask_b32_e32 v120, v44, v173, vcc_lo
	v_and_b32_e32 v86, 0x7f, v86
	v_cndmask_b32_e64 v121, v45, 0, vcc_lo
	v_add_nc_u16 v80, v86, v80
	v_and_b32_e32 v86, 0x7f, v87
	v_lshrrev_b16 v87, 1, v89
	v_lshrrev_b16 v89, 1, v90
	v_lshlrev_b64 v[44:45], 4, v[120:121]
	v_lshrrev_b16 v131, 3, v80
	v_add_nc_u16 v80, v86, v82
	v_and_b32_e32 v82, 0x7f, v87
	v_sub_nc_u16 v86, v92, v88
	v_and_b32_e32 v87, 0x7f, v89
	v_mul_lo_u16 v89, v131, 11
	v_lshrrev_b16 v140, 3, v80
	v_add_nc_u16 v80, v82, v83
	v_lshrrev_b16 v82, 1, v86
	v_add_nc_u16 v83, v87, v85
	v_sub_nc_u16 v141, v46, v89
	v_mul_lo_u16 v46, v140, 11
	v_lshrrev_b16 v142, 3, v80
	v_and_b32_e32 v80, 0x7f, v82
	v_lshrrev_b16 v143, 3, v83
	v_mov_b32_e32 v89, 4
	v_sub_nc_u16 v144, v47, v46
	v_mul_lo_u16 v46, v142, 11
	v_add_co_u32 v44, s0, s2, v44
	v_add_nc_u16 v47, v80, v88
	v_mul_lo_u16 v80, v143, 11
	v_add_co_ci_u32_e64 v45, s0, s3, v45, s0
	v_sub_nc_u16 v145, v81, v46
	v_lshlrev_b32_sdwa v82, v89, v141 dst_sel:DWORD dst_unused:UNUSED_PAD src0_sel:DWORD src1_sel:BYTE_0
	v_lshlrev_b32_sdwa v88, v89, v144 dst_sel:DWORD dst_unused:UNUSED_PAD src0_sel:DWORD src1_sel:BYTE_0
	v_lshrrev_b16 v46, 3, v47
	v_sub_nc_u16 v146, v84, v80
	s_clause 0x1
	global_load_dwordx4 v[84:87], v[44:45], off
	global_load_dwordx4 v[80:83], v82, s[2:3]
	v_lshlrev_b32_sdwa v44, v89, v145 dst_sel:DWORD dst_unused:UNUSED_PAD src0_sel:DWORD src1_sel:BYTE_0
	v_cmp_lt_u16_e64 s0, 10, v173
	v_mul_lo_u16 v45, v46, 11
	v_lshlrev_b32_sdwa v46, v89, v146 dst_sel:DWORD dst_unused:UNUSED_PAD src0_sel:DWORD src1_sel:BYTE_0
	s_clause 0x1
	global_load_dwordx4 v[96:99], v88, s[2:3]
	global_load_dwordx4 v[88:91], v44, s[2:3]
	v_sub_nc_u16 v44, v92, v45
	global_load_dwordx4 v[92:95], v46, s[2:3]
	v_and_b32_e32 v177, 0xff, v44
	v_lshlrev_b32_e32 v44, 4, v177
	global_load_dwordx4 v[44:47], v44, s[2:3]
	s_waitcnt vmcnt(0) lgkmcnt(0)
	s_barrier
	buffer_gl0_inv
	v_mul_f64 v[116:117], v[114:115], v[86:87]
	v_mul_f64 v[118:119], v[112:113], v[86:87]
	;; [unrolled: 1-line block ×10, first 2 shown]
	v_fma_f64 v[112:113], v[112:113], v[84:85], -v[116:117]
	v_fma_f64 v[114:115], v[114:115], v[84:85], v[118:119]
	v_mul_f64 v[116:117], v[74:75], v[46:47]
	v_fma_f64 v[118:119], v[76:77], v[80:81], -v[121:122]
	v_fma_f64 v[121:122], v[78:79], v[80:81], v[123:124]
	v_fma_f64 v[100:101], v[100:101], v[96:97], -v[125:126]
	v_fma_f64 v[125:126], v[110:111], v[88:89], v[134:135]
	v_mul_f64 v[134:135], v[72:73], v[46:47]
	v_fma_f64 v[102:103], v[102:103], v[96:97], v[127:128]
	v_fma_f64 v[123:124], v[108:109], v[88:89], -v[129:130]
	v_fma_f64 v[127:128], v[104:105], v[92:93], -v[136:137]
	v_fma_f64 v[129:130], v[106:107], v[92:93], v[138:139]
	v_mov_b32_e32 v136, 22
	v_add_f64 v[76:77], v[52:53], -v[112:113]
	v_add_f64 v[78:79], v[54:55], -v[114:115]
	v_fma_f64 v[72:73], v[72:73], v[44:45], -v[116:117]
	v_add_f64 v[104:105], v[56:57], -v[118:119]
	v_add_f64 v[106:107], v[58:59], -v[121:122]
	;; [unrolled: 1-line block ×4, first 2 shown]
	v_fma_f64 v[74:75], v[74:75], v[44:45], v[134:135]
	v_add_f64 v[110:111], v[66:67], -v[102:103]
	v_add_f64 v[112:113], v[60:61], -v[123:124]
	v_add_f64 v[116:117], v[68:69], -v[127:128]
	v_add_f64 v[118:119], v[70:71], -v[129:130]
	v_cndmask_b32_e64 v100, 0, 22, s0
	v_mul_u32_u24_sdwa v101, v140, v136 dst_sel:DWORD dst_unused:UNUSED_PAD src0_sel:WORD_0 src1_sel:DWORD
	v_mul_u32_u24_sdwa v121, v142, v136 dst_sel:DWORD dst_unused:UNUSED_PAD src0_sel:WORD_0 src1_sel:DWORD
	;; [unrolled: 1-line block ×3, first 2 shown]
	v_mad_u16 v123, v131, 22, v141
	v_add_nc_u32_e32 v120, v120, v100
	v_add_nc_u32_sdwa v124, v101, v144 dst_sel:DWORD dst_unused:UNUSED_PAD src0_sel:DWORD src1_sel:BYTE_0
	v_fma_f64 v[52:53], v[52:53], 2.0, -v[76:77]
	v_fma_f64 v[54:55], v[54:55], 2.0, -v[78:79]
	v_add_f64 v[100:101], v[48:49], -v[72:73]
	v_fma_f64 v[56:57], v[56:57], 2.0, -v[104:105]
	v_fma_f64 v[58:59], v[58:59], 2.0, -v[106:107]
	;; [unrolled: 1-line block ×4, first 2 shown]
	v_add_f64 v[102:103], v[50:51], -v[74:75]
	v_fma_f64 v[66:67], v[66:67], 2.0, -v[110:111]
	v_fma_f64 v[60:61], v[60:61], 2.0, -v[112:113]
	;; [unrolled: 1-line block ×4, first 2 shown]
	v_add_nc_u32_sdwa v72, v121, v145 dst_sel:DWORD dst_unused:UNUSED_PAD src0_sel:DWORD src1_sel:BYTE_0
	v_add_nc_u32_sdwa v73, v122, v146 dst_sel:DWORD dst_unused:UNUSED_PAD src0_sel:DWORD src1_sel:BYTE_0
	v_and_b32_e32 v74, 0xff, v123
	v_lshl_add_u32 v182, v120, 4, v175
	v_lshl_add_u32 v180, v124, 4, v175
	;; [unrolled: 1-line block ×5, first 2 shown]
	ds_write_b128 v182, v[76:79] offset:176
	ds_write_b128 v182, v[52:55]
	ds_write_b128 v181, v[104:107] offset:176
	ds_write_b128 v181, v[56:59]
	ds_write_b128 v180, v[64:67]
	ds_write_b128 v180, v[108:111] offset:176
	ds_write_b128 v179, v[60:63]
	ds_write_b128 v179, v[112:115] offset:176
	;; [unrolled: 2-line block ×3, first 2 shown]
	s_and_saveexec_b32 s0, vcc_lo
	s_cbranch_execz .LBB0_5
; %bb.4:
	v_fma_f64 v[50:51], v[50:51], 2.0, -v[102:103]
	v_fma_f64 v[48:49], v[48:49], 2.0, -v[100:101]
	v_lshl_add_u32 v52, v177, 4, v175
	ds_write_b128 v52, v[48:51] offset:3520
	ds_write_b128 v52, v[100:103] offset:3696
.LBB0_5:
	s_or_b32 exec_lo, exec_lo, s0
	v_mad_u64_u32 v[150:151], null, 0xa0, v173, s[2:3]
	s_waitcnt lgkmcnt(0)
	s_barrier
	buffer_gl0_inv
	ds_read_b128 v[116:119], v174
	ds_read_b128 v[60:63], v174 offset:352
	ds_read_b128 v[64:67], v174 offset:704
	;; [unrolled: 1-line block ×10, first 2 shown]
	s_mov_b32 s20, 0xf8bb580b
	s_mov_b32 s14, 0x8eee2c13
	s_clause 0x3
	global_load_dwordx4 v[48:51], v[150:151], off offset:224
	global_load_dwordx4 v[52:55], v[150:151], off offset:208
	;; [unrolled: 1-line block ×4, first 2 shown]
	s_mov_b32 s2, 0x43842ef
	s_mov_b32 s22, 0xbb3a28a1
	s_mov_b32 s26, 0xfd768dbf
	s_mov_b32 s21, 0xbfe14ced
	s_mov_b32 s15, 0xbfed1bb4
	s_mov_b32 s3, 0xbfefac9e
	s_mov_b32 s23, 0xbfe82f19
	s_mov_b32 s27, 0xbfd207e7
	s_mov_b32 s16, 0x8764f0ba
	s_mov_b32 s12, 0xd9c712b6
	s_mov_b32 s6, 0x640f44db
	s_mov_b32 s24, 0x7f775887
	s_mov_b32 s28, 0x9bcd5057
	s_mov_b32 s17, 0x3feaeb8c
	s_mov_b32 s13, 0x3fda9628
	s_mov_b32 s7, 0xbfc2375f
	s_mov_b32 s25, 0xbfe4f49e
	s_mov_b32 s29, 0xbfeeb42a
	s_mov_b32 s37, 0x3fd207e7
	s_mov_b32 s36, s26
	s_mov_b32 s19, 0x3fefac9e
	s_mov_b32 s18, s2
	s_mov_b32 s31, 0x3fe14ced
	s_mov_b32 s30, s20
	s_mov_b32 s35, 0x3fed1bb4
	s_mov_b32 s34, s14
	s_mov_b32 s1, 0x3fe82f19
	s_waitcnt vmcnt(0) lgkmcnt(9)
	v_mul_f64 v[120:121], v[62:63], v[74:75]
	v_fma_f64 v[154:155], v[60:61], v[72:73], -v[120:121]
	v_mul_f64 v[60:61], v[60:61], v[74:75]
	v_fma_f64 v[169:170], v[62:63], v[72:73], v[60:61]
	s_waitcnt lgkmcnt(8)
	v_mul_f64 v[60:61], v[66:67], v[58:59]
	v_fma_f64 v[146:147], v[64:65], v[56:57], -v[60:61]
	v_mul_f64 v[60:61], v[64:65], v[58:59]
	v_fma_f64 v[144:145], v[66:67], v[56:57], v[60:61]
	s_waitcnt lgkmcnt(7)
	;; [unrolled: 5-line block ×3, first 2 shown]
	v_mul_f64 v[60:61], v[78:79], v[50:51]
	v_fma_f64 v[134:135], v[76:77], v[48:49], -v[60:61]
	v_mul_f64 v[60:61], v[76:77], v[50:51]
	v_fma_f64 v[124:125], v[78:79], v[48:49], v[60:61]
	s_clause 0x3
	global_load_dwordx4 v[68:71], v[150:151], off offset:288
	global_load_dwordx4 v[64:67], v[150:151], off offset:272
	;; [unrolled: 1-line block ×4, first 2 shown]
	s_waitcnt vmcnt(0) lgkmcnt(5)
	v_mul_f64 v[120:121], v[106:107], v[78:79]
	v_fma_f64 v[126:127], v[104:105], v[76:77], -v[120:121]
	v_mul_f64 v[104:105], v[104:105], v[78:79]
	v_fma_f64 v[120:121], v[106:107], v[76:77], v[104:105]
	s_waitcnt lgkmcnt(4)
	v_mul_f64 v[104:105], v[110:111], v[62:63]
	v_fma_f64 v[128:129], v[108:109], v[60:61], -v[104:105]
	v_mul_f64 v[104:105], v[108:109], v[62:63]
	v_fma_f64 v[122:123], v[110:111], v[60:61], v[104:105]
	s_waitcnt lgkmcnt(3)
	;; [unrolled: 5-line block ×3, first 2 shown]
	v_mul_f64 v[104:105], v[159:160], v[70:71]
	v_add_f64 v[114:115], v[118:119], v[169:170]
	v_fma_f64 v[148:149], v[157:158], v[68:69], -v[104:105]
	v_mul_f64 v[104:105], v[157:158], v[70:71]
	v_add_f64 v[114:115], v[114:115], v[144:145]
	v_fma_f64 v[140:141], v[159:160], v[68:69], v[104:105]
	s_clause 0x1
	global_load_dwordx4 v[104:107], v[150:151], off offset:320
	global_load_dwordx4 v[108:111], v[150:151], off offset:304
	v_add_f64 v[114:115], v[114:115], v[136:137]
	v_add_f64 v[114:115], v[114:115], v[124:125]
	;; [unrolled: 1-line block ×6, first 2 shown]
	s_waitcnt vmcnt(0) lgkmcnt(1)
	v_mul_f64 v[112:113], v[163:164], v[110:111]
	v_fma_f64 v[150:151], v[161:162], v[108:109], -v[112:113]
	v_mul_f64 v[112:113], v[161:162], v[110:111]
	v_fma_f64 v[157:158], v[163:164], v[108:109], v[112:113]
	s_waitcnt lgkmcnt(0)
	v_mul_f64 v[112:113], v[167:168], v[106:107]
	v_add_f64 v[114:115], v[114:115], v[157:158]
	v_fma_f64 v[159:160], v[165:166], v[104:105], -v[112:113]
	v_mul_f64 v[112:113], v[165:166], v[106:107]
	v_add_f64 v[163:164], v[154:155], v[159:160]
	v_fma_f64 v[161:162], v[167:168], v[104:105], v[112:113]
	v_add_f64 v[112:113], v[116:117], v[154:155]
	v_add_f64 v[154:155], v[154:155], -v[159:160]
	v_add_f64 v[114:115], v[114:115], v[161:162]
	v_add_f64 v[112:113], v[112:113], v[146:147]
	;; [unrolled: 1-line block ×3, first 2 shown]
	v_mul_f64 v[187:188], v[154:155], s[14:15]
	v_mul_f64 v[195:196], v[154:155], s[2:3]
	;; [unrolled: 1-line block ×3, first 2 shown]
	v_add_f64 v[112:113], v[112:113], v[142:143]
	v_fma_f64 v[189:190], v[165:166], s[12:13], v[187:188]
	v_fma_f64 v[187:188], v[165:166], s[12:13], -v[187:188]
	v_fma_f64 v[197:198], v[165:166], s[6:7], v[195:196]
	v_fma_f64 v[195:196], v[165:166], s[6:7], -v[195:196]
	;; [unrolled: 2-line block ×3, first 2 shown]
	v_add_f64 v[112:113], v[112:113], v[134:135]
	v_add_f64 v[189:190], v[118:119], v[189:190]
	v_add_f64 v[187:188], v[118:119], v[187:188]
	v_add_f64 v[197:198], v[118:119], v[197:198]
	v_add_f64 v[195:196], v[118:119], v[195:196]
	v_add_f64 v[205:206], v[118:119], v[205:206]
	v_add_f64 v[203:204], v[118:119], v[203:204]
	v_add_f64 v[112:113], v[112:113], v[126:127]
	v_add_f64 v[112:113], v[112:113], v[128:129]
	v_add_f64 v[112:113], v[112:113], v[138:139]
	v_add_f64 v[112:113], v[112:113], v[148:149]
	v_add_f64 v[112:113], v[112:113], v[150:151]
	v_add_f64 v[112:113], v[112:113], v[159:160]
	v_add_f64 v[159:160], v[169:170], -v[161:162]
	v_mul_f64 v[169:170], v[154:155], s[20:21]
	v_mul_f64 v[154:155], v[154:155], s[26:27]
	;; [unrolled: 1-line block ×7, first 2 shown]
	v_fma_f64 v[171:172], v[165:166], s[16:17], v[169:170]
	v_fma_f64 v[169:170], v[165:166], s[16:17], -v[169:170]
	v_fma_f64 v[209:210], v[165:166], s[28:29], v[154:155]
	v_fma_f64 v[154:155], v[165:166], s[28:29], -v[154:155]
	v_fma_f64 v[167:168], v[163:164], s[16:17], -v[161:162]
	v_fma_f64 v[161:162], v[163:164], s[16:17], v[161:162]
	v_fma_f64 v[185:186], v[163:164], s[12:13], -v[183:184]
	v_fma_f64 v[183:184], v[163:164], s[12:13], v[183:184]
	;; [unrolled: 2-line block ×5, first 2 shown]
	v_add_f64 v[171:172], v[118:119], v[171:172]
	v_add_f64 v[169:170], v[118:119], v[169:170]
	;; [unrolled: 1-line block ×5, first 2 shown]
	v_add_f64 v[146:147], v[146:147], -v[150:151]
	v_add_f64 v[167:168], v[116:117], v[167:168]
	v_add_f64 v[161:162], v[116:117], v[161:162]
	;; [unrolled: 1-line block ×11, first 2 shown]
	v_add_f64 v[144:145], v[144:145], -v[157:158]
	v_mul_f64 v[163:164], v[146:147], s[14:15]
	v_mul_f64 v[150:151], v[144:145], s[14:15]
	v_fma_f64 v[165:166], v[159:160], s[12:13], v[163:164]
	v_fma_f64 v[157:158], v[154:155], s[12:13], -v[150:151]
	v_fma_f64 v[150:151], v[154:155], s[12:13], v[150:151]
	v_add_f64 v[165:166], v[165:166], v[171:172]
	v_add_f64 v[157:158], v[157:158], v[167:168]
	;; [unrolled: 1-line block ×3, first 2 shown]
	v_fma_f64 v[161:162], v[159:160], s[12:13], -v[163:164]
	v_mul_f64 v[163:164], v[144:145], s[22:23]
	v_add_f64 v[161:162], v[161:162], v[169:170]
	v_fma_f64 v[167:168], v[154:155], s[24:25], -v[163:164]
	v_fma_f64 v[163:164], v[154:155], s[24:25], v[163:164]
	v_mul_f64 v[169:170], v[146:147], s[22:23]
	v_add_f64 v[167:168], v[167:168], v[185:186]
	v_add_f64 v[163:164], v[163:164], v[183:184]
	v_mul_f64 v[183:184], v[144:145], s[36:37]
	v_fma_f64 v[171:172], v[159:160], s[24:25], v[169:170]
	v_fma_f64 v[169:170], v[159:160], s[24:25], -v[169:170]
	v_fma_f64 v[185:186], v[154:155], s[28:29], -v[183:184]
	v_fma_f64 v[183:184], v[154:155], s[28:29], v[183:184]
	v_add_f64 v[169:170], v[169:170], v[187:188]
	v_mul_f64 v[187:188], v[146:147], s[36:37]
	v_add_f64 v[171:172], v[171:172], v[189:190]
	v_add_f64 v[185:186], v[185:186], v[193:194]
	v_add_f64 v[183:184], v[183:184], v[191:192]
	v_mul_f64 v[191:192], v[144:145], s[18:19]
	v_fma_f64 v[189:190], v[159:160], s[28:29], v[187:188]
	v_fma_f64 v[187:188], v[159:160], s[28:29], -v[187:188]
	v_mul_f64 v[144:145], v[144:145], s[30:31]
	v_fma_f64 v[193:194], v[154:155], s[6:7], -v[191:192]
	v_fma_f64 v[191:192], v[154:155], s[6:7], v[191:192]
	v_add_f64 v[187:188], v[187:188], v[195:196]
	v_mul_f64 v[195:196], v[146:147], s[18:19]
	v_mul_f64 v[146:147], v[146:147], s[30:31]
	v_add_f64 v[189:190], v[189:190], v[197:198]
	v_add_f64 v[193:194], v[193:194], v[201:202]
	;; [unrolled: 1-line block ×3, first 2 shown]
	v_fma_f64 v[199:200], v[154:155], s[16:17], -v[144:145]
	v_fma_f64 v[144:145], v[154:155], s[16:17], v[144:145]
	v_fma_f64 v[201:202], v[159:160], s[16:17], v[146:147]
	;; [unrolled: 1-line block ×3, first 2 shown]
	v_fma_f64 v[195:196], v[159:160], s[6:7], -v[195:196]
	v_add_f64 v[199:200], v[199:200], v[207:208]
	v_add_f64 v[116:117], v[144:145], v[116:117]
	v_fma_f64 v[144:145], v[159:160], s[16:17], -v[146:147]
	v_add_f64 v[146:147], v[136:137], v[140:141]
	v_add_f64 v[136:137], v[136:137], -v[140:141]
	v_add_f64 v[195:196], v[195:196], v[203:204]
	v_add_f64 v[197:198], v[197:198], v[205:206]
	v_add_f64 v[201:202], v[201:202], v[209:210]
	v_add_f64 v[118:119], v[144:145], v[118:119]
	v_add_f64 v[144:145], v[142:143], v[148:149]
	v_add_f64 v[142:143], v[142:143], -v[148:149]
	v_mul_f64 v[140:141], v[136:137], s[2:3]
	v_mul_f64 v[154:155], v[142:143], s[2:3]
	v_fma_f64 v[148:149], v[144:145], s[6:7], -v[140:141]
	v_fma_f64 v[140:141], v[144:145], s[6:7], v[140:141]
	v_add_f64 v[148:149], v[148:149], v[157:158]
	v_fma_f64 v[157:158], v[146:147], s[6:7], v[154:155]
	v_add_f64 v[140:141], v[140:141], v[150:151]
	v_fma_f64 v[150:151], v[146:147], s[6:7], -v[154:155]
	v_mul_f64 v[154:155], v[136:137], s[36:37]
	v_add_f64 v[157:158], v[157:158], v[165:166]
	v_add_f64 v[150:151], v[150:151], v[161:162]
	v_fma_f64 v[159:160], v[144:145], s[28:29], -v[154:155]
	v_fma_f64 v[154:155], v[144:145], s[28:29], v[154:155]
	v_mul_f64 v[161:162], v[142:143], s[36:37]
	v_add_f64 v[159:160], v[159:160], v[167:168]
	v_add_f64 v[154:155], v[154:155], v[163:164]
	v_mul_f64 v[163:164], v[136:137], s[34:35]
	v_fma_f64 v[165:166], v[146:147], s[28:29], v[161:162]
	v_fma_f64 v[161:162], v[146:147], s[28:29], -v[161:162]
	v_fma_f64 v[167:168], v[144:145], s[12:13], -v[163:164]
	v_fma_f64 v[163:164], v[144:145], s[12:13], v[163:164]
	v_add_f64 v[161:162], v[161:162], v[169:170]
	v_mul_f64 v[169:170], v[142:143], s[34:35]
	v_add_f64 v[165:166], v[165:166], v[171:172]
	v_add_f64 v[167:168], v[167:168], v[185:186]
	;; [unrolled: 1-line block ×3, first 2 shown]
	v_mul_f64 v[183:184], v[136:137], s[20:21]
	v_fma_f64 v[171:172], v[146:147], s[12:13], v[169:170]
	v_fma_f64 v[169:170], v[146:147], s[12:13], -v[169:170]
	v_mul_f64 v[136:137], v[136:137], s[22:23]
	v_fma_f64 v[185:186], v[144:145], s[16:17], -v[183:184]
	v_fma_f64 v[183:184], v[144:145], s[16:17], v[183:184]
	v_add_f64 v[169:170], v[169:170], v[187:188]
	v_mul_f64 v[187:188], v[142:143], s[20:21]
	v_mul_f64 v[142:143], v[142:143], s[22:23]
	v_add_f64 v[171:172], v[171:172], v[189:190]
	v_add_f64 v[185:186], v[185:186], v[193:194]
	;; [unrolled: 1-line block ×3, first 2 shown]
	v_fma_f64 v[191:192], v[144:145], s[24:25], -v[136:137]
	v_fma_f64 v[136:137], v[144:145], s[24:25], v[136:137]
	v_add_f64 v[144:145], v[124:125], v[130:131]
	v_add_f64 v[124:125], v[124:125], -v[130:131]
	v_fma_f64 v[189:190], v[146:147], s[16:17], v[187:188]
	v_fma_f64 v[187:188], v[146:147], s[16:17], -v[187:188]
	v_fma_f64 v[193:194], v[146:147], s[24:25], v[142:143]
	v_add_f64 v[191:192], v[191:192], v[199:200]
	v_add_f64 v[116:117], v[136:137], v[116:117]
	v_fma_f64 v[136:137], v[146:147], s[24:25], -v[142:143]
	v_mul_f64 v[130:131], v[124:125], s[22:23]
	v_add_f64 v[189:190], v[189:190], v[197:198]
	v_add_f64 v[187:188], v[187:188], v[195:196]
	;; [unrolled: 1-line block ×5, first 2 shown]
	v_add_f64 v[134:135], v[134:135], -v[138:139]
	v_fma_f64 v[138:139], v[136:137], s[24:25], -v[130:131]
	v_fma_f64 v[130:131], v[136:137], s[24:25], v[130:131]
	v_add_f64 v[195:196], v[138:139], v[148:149]
	v_mul_f64 v[138:139], v[134:135], s[22:23]
	v_add_f64 v[130:131], v[130:131], v[140:141]
	v_fma_f64 v[142:143], v[144:145], s[24:25], v[138:139]
	v_fma_f64 v[138:139], v[144:145], s[24:25], -v[138:139]
	v_add_f64 v[157:158], v[142:143], v[157:158]
	v_add_f64 v[197:198], v[138:139], v[150:151]
	v_mul_f64 v[138:139], v[124:125], s[18:19]
	v_fma_f64 v[140:141], v[136:137], s[6:7], -v[138:139]
	v_fma_f64 v[138:139], v[136:137], s[6:7], v[138:139]
	v_add_f64 v[159:160], v[140:141], v[159:160]
	v_mul_f64 v[140:141], v[134:135], s[18:19]
	v_add_f64 v[154:155], v[138:139], v[154:155]
	v_fma_f64 v[138:139], v[144:145], s[6:7], -v[140:141]
	v_fma_f64 v[142:143], v[144:145], s[6:7], v[140:141]
	v_add_f64 v[161:162], v[138:139], v[161:162]
	v_mul_f64 v[138:139], v[124:125], s[20:21]
	v_add_f64 v[165:166], v[142:143], v[165:166]
	;; [unrolled: 5-line block ×3, first 2 shown]
	v_fma_f64 v[138:139], v[144:145], s[16:17], -v[140:141]
	v_fma_f64 v[142:143], v[144:145], s[16:17], v[140:141]
	v_add_f64 v[169:170], v[138:139], v[169:170]
	v_mul_f64 v[138:139], v[124:125], s[26:27]
	v_mul_f64 v[124:125], v[124:125], s[34:35]
	v_add_f64 v[171:172], v[142:143], v[171:172]
	v_fma_f64 v[140:141], v[136:137], s[28:29], -v[138:139]
	v_fma_f64 v[138:139], v[136:137], s[28:29], v[138:139]
	v_add_f64 v[185:186], v[140:141], v[185:186]
	v_mul_f64 v[140:141], v[134:135], s[26:27]
	v_add_f64 v[150:151], v[138:139], v[183:184]
	v_mul_f64 v[134:135], v[134:135], s[34:35]
	v_add_f64 v[183:184], v[120:121], -v[122:123]
	v_fma_f64 v[138:139], v[144:145], s[28:29], -v[140:141]
	v_fma_f64 v[142:143], v[144:145], s[28:29], v[140:141]
	v_add_f64 v[140:141], v[126:127], v[128:129]
	v_add_f64 v[148:149], v[138:139], v[187:188]
	v_fma_f64 v[138:139], v[136:137], s[12:13], -v[124:125]
	v_fma_f64 v[124:125], v[136:137], s[12:13], v[124:125]
	v_add_f64 v[189:190], v[142:143], v[189:190]
	v_add_f64 v[136:137], v[120:121], v[122:123]
	v_mul_f64 v[120:121], v[183:184], s[26:27]
	v_add_f64 v[146:147], v[138:139], v[191:192]
	v_fma_f64 v[138:139], v[144:145], s[12:13], v[134:135]
	v_add_f64 v[142:143], v[138:139], v[193:194]
	v_add_f64 v[138:139], v[124:125], v[116:117]
	v_fma_f64 v[116:117], v[144:145], s[12:13], -v[134:135]
	v_add_f64 v[144:145], v[126:127], -v[128:129]
	v_mul_f64 v[128:129], v[183:184], s[30:31]
	v_add_f64 v[134:135], v[116:117], v[118:119]
	v_fma_f64 v[116:117], v[140:141], s[28:29], -v[120:121]
	v_fma_f64 v[120:121], v[140:141], s[28:29], v[120:121]
	v_mul_f64 v[122:123], v[144:145], s[26:27]
	v_fma_f64 v[124:125], v[140:141], s[16:17], -v[128:129]
	v_fma_f64 v[128:129], v[140:141], s[16:17], v[128:129]
	v_add_f64 v[116:117], v[116:117], v[195:196]
	v_add_f64 v[120:121], v[120:121], v[130:131]
	v_mul_f64 v[130:131], v[144:145], s[30:31]
	v_fma_f64 v[118:119], v[136:137], s[28:29], v[122:123]
	v_add_f64 v[128:129], v[128:129], v[154:155]
	v_mul_f64 v[154:155], v[183:184], s[22:23]
	v_add_f64 v[124:125], v[124:125], v[159:160]
	v_fma_f64 v[122:123], v[136:137], s[28:29], -v[122:123]
	v_fma_f64 v[126:127], v[136:137], s[16:17], v[130:131]
	v_add_f64 v[118:119], v[118:119], v[157:158]
	v_fma_f64 v[130:131], v[136:137], s[16:17], -v[130:131]
	v_fma_f64 v[157:158], v[140:141], s[24:25], -v[154:155]
	v_fma_f64 v[154:155], v[140:141], s[24:25], v[154:155]
	v_add_f64 v[122:123], v[122:123], v[197:198]
	v_add_f64 v[126:127], v[126:127], v[165:166]
	v_mul_f64 v[165:166], v[144:145], s[22:23]
	v_add_f64 v[130:131], v[130:131], v[161:162]
	v_add_f64 v[157:158], v[157:158], v[167:168]
	;; [unrolled: 1-line block ×3, first 2 shown]
	v_fma_f64 v[154:155], v[136:137], s[24:25], -v[165:166]
	v_fma_f64 v[159:160], v[136:137], s[24:25], v[165:166]
	v_add_f64 v[163:164], v[154:155], v[169:170]
	v_mul_f64 v[154:155], v[183:184], s[34:35]
	v_add_f64 v[159:160], v[159:160], v[171:172]
	v_mul_f64 v[171:172], v[144:145], s[34:35]
	v_mul_f64 v[144:145], v[144:145], s[2:3]
	v_fma_f64 v[165:166], v[140:141], s[12:13], -v[154:155]
	v_fma_f64 v[154:155], v[140:141], s[12:13], v[154:155]
	v_fma_f64 v[167:168], v[136:137], s[12:13], v[171:172]
	v_add_f64 v[165:166], v[165:166], v[185:186]
	v_add_f64 v[169:170], v[154:155], v[150:151]
	v_fma_f64 v[150:151], v[136:137], s[12:13], -v[171:172]
	v_add_f64 v[167:168], v[167:168], v[189:190]
	v_add_f64 v[171:172], v[150:151], v[148:149]
	v_mul_f64 v[150:151], v[183:184], s[2:3]
	v_fma_f64 v[148:149], v[140:141], s[6:7], -v[150:151]
	v_fma_f64 v[140:141], v[140:141], s[6:7], v[150:151]
	v_add_f64 v[146:147], v[148:149], v[146:147]
	v_fma_f64 v[148:149], v[136:137], s[6:7], v[144:145]
	v_fma_f64 v[136:137], v[136:137], s[6:7], -v[144:145]
	v_add_f64 v[138:139], v[140:141], v[138:139]
	v_add_f64 v[148:149], v[148:149], v[142:143]
	;; [unrolled: 1-line block ×3, first 2 shown]
	ds_write_b128 v174, v[112:115]
	ds_write_b128 v174, v[116:119] offset:352
	ds_write_b128 v174, v[124:127] offset:704
	;; [unrolled: 1-line block ×10, first 2 shown]
	s_waitcnt lgkmcnt(0)
	s_barrier
	buffer_gl0_inv
	global_load_dwordx4 v[116:119], v[132:133], off offset:1824
	ds_read_b128 v[112:115], v174
	v_add_co_u32 v124, s0, 0xf20, v152
	v_add_co_ci_u32_e64 v125, s0, 0, v153, s0
	s_waitcnt vmcnt(0) lgkmcnt(0)
	v_mul_f64 v[120:121], v[114:115], v[118:119]
	v_fma_f64 v[120:121], v[112:113], v[116:117], -v[120:121]
	v_mul_f64 v[112:113], v[112:113], v[118:119]
	v_fma_f64 v[122:123], v[114:115], v[116:117], v[112:113]
	global_load_dwordx4 v[116:119], v[124:125], off offset:352
	ds_read_b128 v[112:115], v174 offset:352
	ds_write_b128 v174, v[120:123]
	s_waitcnt vmcnt(0) lgkmcnt(1)
	v_mul_f64 v[120:121], v[114:115], v[118:119]
	v_fma_f64 v[120:121], v[112:113], v[116:117], -v[120:121]
	v_mul_f64 v[112:113], v[112:113], v[118:119]
	v_fma_f64 v[122:123], v[114:115], v[116:117], v[112:113]
	global_load_dwordx4 v[116:119], v[124:125], off offset:704
	ds_read_b128 v[112:115], v174 offset:704
	ds_write_b128 v174, v[120:123] offset:352
	s_waitcnt vmcnt(0) lgkmcnt(1)
	v_mul_f64 v[120:121], v[114:115], v[118:119]
	v_fma_f64 v[120:121], v[112:113], v[116:117], -v[120:121]
	v_mul_f64 v[112:113], v[112:113], v[118:119]
	v_fma_f64 v[122:123], v[114:115], v[116:117], v[112:113]
	global_load_dwordx4 v[116:119], v[124:125], off offset:1056
	ds_read_b128 v[112:115], v174 offset:1056
	ds_write_b128 v174, v[120:123] offset:704
	;; [unrolled: 8-line block ×4, first 2 shown]
	s_waitcnt vmcnt(0) lgkmcnt(1)
	v_mul_f64 v[120:121], v[114:115], v[118:119]
	v_fma_f64 v[120:121], v[112:113], v[116:117], -v[120:121]
	v_mul_f64 v[112:113], v[112:113], v[118:119]
	v_fma_f64 v[122:123], v[114:115], v[116:117], v[112:113]
	v_add_co_u32 v116, s0, 0x1000, v152
	v_add_co_ci_u32_e64 v117, s0, 0, v153, s0
	ds_read_b128 v[112:115], v174 offset:2112
	v_add_co_u32 v124, s0, 0x1800, v152
	global_load_dwordx4 v[116:119], v[116:117], off offset:1888
	v_add_co_ci_u32_e64 v125, s0, 0, v153, s0
	s_mov_b32 s0, s22
	ds_write_b128 v174, v[120:123] offset:1760
	s_waitcnt vmcnt(0) lgkmcnt(1)
	v_mul_f64 v[120:121], v[114:115], v[118:119]
	v_fma_f64 v[120:121], v[112:113], v[116:117], -v[120:121]
	v_mul_f64 v[112:113], v[112:113], v[118:119]
	v_fma_f64 v[122:123], v[114:115], v[116:117], v[112:113]
	global_load_dwordx4 v[116:119], v[124:125], off offset:192
	ds_read_b128 v[112:115], v174 offset:2464
	ds_write_b128 v174, v[120:123] offset:2112
	s_waitcnt vmcnt(0) lgkmcnt(1)
	v_mul_f64 v[120:121], v[114:115], v[118:119]
	v_fma_f64 v[120:121], v[112:113], v[116:117], -v[120:121]
	v_mul_f64 v[112:113], v[112:113], v[118:119]
	v_fma_f64 v[122:123], v[114:115], v[116:117], v[112:113]
	global_load_dwordx4 v[116:119], v[124:125], off offset:544
	ds_read_b128 v[112:115], v174 offset:2816
	;; [unrolled: 8-line block ×4, first 2 shown]
	ds_write_b128 v174, v[120:123] offset:3168
	s_waitcnt vmcnt(0) lgkmcnt(1)
	v_mul_f64 v[120:121], v[114:115], v[118:119]
	v_fma_f64 v[120:121], v[112:113], v[116:117], -v[120:121]
	v_mul_f64 v[112:113], v[112:113], v[118:119]
	v_fma_f64 v[122:123], v[114:115], v[116:117], v[112:113]
	ds_write_b128 v174, v[120:123] offset:3520
	s_waitcnt lgkmcnt(0)
	s_barrier
	buffer_gl0_inv
	ds_read_b128 v[124:127], v174
	ds_read_b128 v[128:131], v174 offset:352
	ds_read_b128 v[132:135], v174 offset:704
	;; [unrolled: 1-line block ×10, first 2 shown]
	s_waitcnt lgkmcnt(0)
	s_barrier
	buffer_gl0_inv
	v_add_f64 v[112:113], v[124:125], v[128:129]
	v_add_f64 v[114:115], v[126:127], v[130:131]
	;; [unrolled: 1-line block ×3, first 2 shown]
	v_add_f64 v[130:131], v[130:131], -v[159:160]
	v_add_f64 v[161:162], v[128:129], v[157:158]
	v_add_f64 v[128:129], v[128:129], -v[157:158]
	v_add_f64 v[112:113], v[112:113], v[132:133]
	v_add_f64 v[114:115], v[114:115], v[134:135]
	v_mul_f64 v[165:166], v[163:164], s[16:17]
	v_mul_f64 v[169:170], v[130:131], s[14:15]
	;; [unrolled: 1-line block ×8, first 2 shown]
	v_add_f64 v[112:113], v[112:113], v[136:137]
	v_add_f64 v[114:115], v[114:115], v[138:139]
	v_fma_f64 v[167:168], v[128:129], s[30:31], v[165:166]
	v_fma_f64 v[171:172], v[161:162], s[12:13], v[169:170]
	v_fma_f64 v[169:170], v[161:162], s[12:13], -v[169:170]
	v_fma_f64 v[189:190], v[161:162], s[6:7], v[187:188]
	v_fma_f64 v[187:188], v[161:162], s[6:7], -v[187:188]
	;; [unrolled: 2-line block ×3, first 2 shown]
	v_fma_f64 v[165:166], v[128:129], s[20:21], v[165:166]
	v_fma_f64 v[185:186], v[128:129], s[34:35], v[183:184]
	;; [unrolled: 1-line block ×6, first 2 shown]
	v_add_f64 v[112:113], v[112:113], v[140:141]
	v_add_f64 v[114:115], v[114:115], v[142:143]
	v_fma_f64 v[199:200], v[128:129], s[22:23], v[199:200]
	v_fma_f64 v[205:206], v[128:129], s[36:37], v[163:164]
	;; [unrolled: 1-line block ×3, first 2 shown]
	v_add_f64 v[167:168], v[126:127], v[167:168]
	v_add_f64 v[171:172], v[124:125], v[171:172]
	;; [unrolled: 1-line block ×19, first 2 shown]
	v_add_f64 v[132:133], v[132:133], -v[152:153]
	v_add_f64 v[112:113], v[112:113], v[120:121]
	v_add_f64 v[114:115], v[114:115], v[122:123]
	;; [unrolled: 1-line block ×9, first 2 shown]
	v_mul_f64 v[157:158], v[130:131], s[20:21]
	v_mul_f64 v[130:131], v[130:131], s[26:27]
	v_add_f64 v[114:115], v[114:115], v[159:160]
	v_fma_f64 v[159:160], v[161:162], s[16:17], v[157:158]
	v_fma_f64 v[157:158], v[161:162], s[16:17], -v[157:158]
	v_fma_f64 v[203:204], v[161:162], s[28:29], v[130:131]
	v_fma_f64 v[130:131], v[161:162], s[28:29], -v[130:131]
	v_add_f64 v[159:160], v[124:125], v[159:160]
	v_add_f64 v[157:158], v[124:125], v[157:158]
	;; [unrolled: 1-line block ×5, first 2 shown]
	v_add_f64 v[134:135], v[134:135], -v[154:155]
	v_mul_f64 v[152:153], v[134:135], s[14:15]
	v_fma_f64 v[154:155], v[128:129], s[12:13], v[152:153]
	v_fma_f64 v[152:153], v[128:129], s[12:13], -v[152:153]
	v_add_f64 v[154:155], v[154:155], v[159:160]
	v_mul_f64 v[159:160], v[130:131], s[12:13]
	v_add_f64 v[152:153], v[152:153], v[157:158]
	v_fma_f64 v[161:162], v[132:133], s[34:35], v[159:160]
	v_fma_f64 v[157:158], v[132:133], s[14:15], v[159:160]
	v_mul_f64 v[159:160], v[134:135], s[22:23]
	v_add_f64 v[161:162], v[161:162], v[167:168]
	v_add_f64 v[157:158], v[157:158], v[165:166]
	v_fma_f64 v[163:164], v[128:129], s[24:25], v[159:160]
	v_fma_f64 v[159:160], v[128:129], s[24:25], -v[159:160]
	v_mul_f64 v[165:166], v[130:131], s[24:25]
	v_add_f64 v[163:164], v[163:164], v[171:172]
	v_add_f64 v[159:160], v[159:160], v[169:170]
	v_mul_f64 v[169:170], v[134:135], s[36:37]
	v_fma_f64 v[167:168], v[132:133], s[0:1], v[165:166]
	v_fma_f64 v[165:166], v[132:133], s[22:23], v[165:166]
	;; [unrolled: 1-line block ×3, first 2 shown]
	v_fma_f64 v[169:170], v[128:129], s[28:29], -v[169:170]
	v_add_f64 v[165:166], v[165:166], v[183:184]
	v_mul_f64 v[183:184], v[130:131], s[28:29]
	v_add_f64 v[167:168], v[167:168], v[185:186]
	v_add_f64 v[171:172], v[171:172], v[189:190]
	;; [unrolled: 1-line block ×3, first 2 shown]
	v_mul_f64 v[187:188], v[134:135], s[18:19]
	v_fma_f64 v[185:186], v[132:133], s[26:27], v[183:184]
	v_fma_f64 v[183:184], v[132:133], s[36:37], v[183:184]
	v_mul_f64 v[134:135], v[134:135], s[30:31]
	v_fma_f64 v[189:190], v[128:129], s[6:7], v[187:188]
	v_fma_f64 v[187:188], v[128:129], s[6:7], -v[187:188]
	v_add_f64 v[183:184], v[183:184], v[191:192]
	v_mul_f64 v[191:192], v[130:131], s[6:7]
	v_mul_f64 v[130:131], v[130:131], s[16:17]
	v_add_f64 v[185:186], v[185:186], v[193:194]
	v_add_f64 v[189:190], v[189:190], v[197:198]
	;; [unrolled: 1-line block ×3, first 2 shown]
	v_fma_f64 v[195:196], v[128:129], s[16:17], v[134:135]
	v_fma_f64 v[128:129], v[128:129], s[16:17], -v[134:135]
	v_fma_f64 v[197:198], v[132:133], s[20:21], v[130:131]
	v_fma_f64 v[193:194], v[132:133], s[2:3], v[191:192]
	;; [unrolled: 1-line block ×3, first 2 shown]
	v_add_f64 v[134:135], v[138:139], -v[150:151]
	v_add_f64 v[195:196], v[195:196], v[203:204]
	v_add_f64 v[124:125], v[128:129], v[124:125]
	v_fma_f64 v[128:129], v[132:133], s[30:31], v[130:131]
	v_add_f64 v[130:131], v[138:139], v[150:151]
	v_add_f64 v[132:133], v[136:137], -v[148:149]
	v_add_f64 v[191:192], v[191:192], v[199:200]
	v_add_f64 v[197:198], v[197:198], v[205:206]
	;; [unrolled: 1-line block ×3, first 2 shown]
	v_add_f64 v[142:143], v[142:143], -v[146:147]
	v_add_f64 v[193:194], v[193:194], v[201:202]
	v_add_f64 v[203:204], v[140:141], v[144:145]
	v_add_f64 v[140:141], v[140:141], -v[144:145]
	v_add_f64 v[126:127], v[128:129], v[126:127]
	v_add_f64 v[128:129], v[136:137], v[148:149]
	v_mul_f64 v[148:149], v[130:131], s[6:7]
	v_mul_f64 v[136:137], v[134:135], s[2:3]
	;; [unrolled: 1-line block ×3, first 2 shown]
	v_fma_f64 v[150:151], v[132:133], s[18:19], v[148:149]
	v_fma_f64 v[148:149], v[132:133], s[2:3], v[148:149]
	v_fma_f64 v[138:139], v[128:129], s[6:7], v[136:137]
	v_fma_f64 v[136:137], v[128:129], s[6:7], -v[136:137]
	v_fma_f64 v[146:147], v[203:204], s[28:29], v[144:145]
	v_fma_f64 v[144:145], v[203:204], s[28:29], -v[144:145]
	v_add_f64 v[150:151], v[150:151], v[161:162]
	v_add_f64 v[148:149], v[148:149], v[157:158]
	v_mul_f64 v[157:158], v[130:131], s[28:29]
	v_add_f64 v[136:137], v[136:137], v[152:153]
	v_mul_f64 v[152:153], v[134:135], s[36:37]
	v_add_f64 v[138:139], v[138:139], v[154:155]
	v_fma_f64 v[161:162], v[132:133], s[26:27], v[157:158]
	v_fma_f64 v[157:158], v[132:133], s[36:37], v[157:158]
	;; [unrolled: 1-line block ×3, first 2 shown]
	v_fma_f64 v[152:153], v[128:129], s[28:29], -v[152:153]
	v_add_f64 v[167:168], v[161:162], v[167:168]
	v_add_f64 v[165:166], v[157:158], v[165:166]
	v_mul_f64 v[157:158], v[134:135], s[34:35]
	v_add_f64 v[152:153], v[152:153], v[159:160]
	v_add_f64 v[154:155], v[154:155], v[163:164]
	v_fma_f64 v[159:160], v[128:129], s[12:13], v[157:158]
	v_fma_f64 v[157:158], v[128:129], s[12:13], -v[157:158]
	v_add_f64 v[171:172], v[159:160], v[171:172]
	v_mul_f64 v[159:160], v[130:131], s[12:13]
	v_add_f64 v[169:170], v[157:158], v[169:170]
	v_fma_f64 v[157:158], v[132:133], s[34:35], v[159:160]
	v_fma_f64 v[161:162], v[132:133], s[14:15], v[159:160]
	v_add_f64 v[183:184], v[157:158], v[183:184]
	v_mul_f64 v[157:158], v[134:135], s[20:21]
	v_mul_f64 v[134:135], v[134:135], s[22:23]
	v_add_f64 v[185:186], v[161:162], v[185:186]
	v_fma_f64 v[159:160], v[128:129], s[16:17], v[157:158]
	v_fma_f64 v[157:158], v[128:129], s[16:17], -v[157:158]
	v_add_f64 v[189:190], v[159:160], v[189:190]
	v_mul_f64 v[159:160], v[130:131], s[16:17]
	v_add_f64 v[187:188], v[157:158], v[187:188]
	v_mul_f64 v[130:131], v[130:131], s[24:25]
	v_fma_f64 v[157:158], v[132:133], s[20:21], v[159:160]
	v_fma_f64 v[161:162], v[132:133], s[30:31], v[159:160]
	v_add_f64 v[191:192], v[157:158], v[191:192]
	v_fma_f64 v[157:158], v[128:129], s[24:25], v[134:135]
	v_fma_f64 v[128:129], v[128:129], s[24:25], -v[134:135]
	v_add_f64 v[193:194], v[161:162], v[193:194]
	v_add_f64 v[195:196], v[157:158], v[195:196]
	;; [unrolled: 1-line block ×3, first 2 shown]
	v_fma_f64 v[124:125], v[132:133], s[22:23], v[130:131]
	v_fma_f64 v[157:158], v[132:133], s[0:1], v[130:131]
	v_add_f64 v[201:202], v[124:125], v[126:127]
	v_mul_f64 v[124:125], v[142:143], s[22:23]
	v_add_f64 v[197:198], v[157:158], v[197:198]
	v_fma_f64 v[126:127], v[203:204], s[24:25], v[124:125]
	v_fma_f64 v[124:125], v[203:204], s[24:25], -v[124:125]
	v_add_f64 v[163:164], v[126:127], v[138:139]
	v_mul_f64 v[126:127], v[205:206], s[24:25]
	v_add_f64 v[159:160], v[124:125], v[136:137]
	v_mul_f64 v[136:137], v[142:143], s[20:21]
	v_mul_f64 v[138:139], v[205:206], s[16:17]
	v_fma_f64 v[124:125], v[140:141], s[22:23], v[126:127]
	v_fma_f64 v[128:129], v[140:141], s[0:1], v[126:127]
	;; [unrolled: 1-line block ×4, first 2 shown]
	v_fma_f64 v[136:137], v[203:204], s[16:17], -v[136:137]
	v_fma_f64 v[138:139], v[140:141], s[20:21], v[138:139]
	v_add_f64 v[161:162], v[124:125], v[148:149]
	v_mul_f64 v[124:125], v[142:143], s[18:19]
	v_add_f64 v[157:158], v[128:129], v[150:151]
	v_add_f64 v[150:151], v[144:145], v[187:188]
	v_mul_f64 v[142:143], v[142:143], s[34:35]
	v_add_f64 v[132:133], v[132:133], v[171:172]
	v_add_f64 v[171:172], v[118:119], -v[122:123]
	v_add_f64 v[136:137], v[136:137], v[169:170]
	v_add_f64 v[169:170], v[118:119], v[122:123]
	;; [unrolled: 1-line block ×4, first 2 shown]
	v_fma_f64 v[126:127], v[203:204], s[6:7], v[124:125]
	v_fma_f64 v[124:125], v[203:204], s[6:7], -v[124:125]
	v_add_f64 v[128:129], v[126:127], v[154:155]
	v_mul_f64 v[126:127], v[205:206], s[6:7]
	v_add_f64 v[124:125], v[124:125], v[152:153]
	v_add_f64 v[152:153], v[146:147], v[189:190]
	v_mul_f64 v[146:147], v[205:206], s[28:29]
	v_fma_f64 v[130:131], v[140:141], s[2:3], v[126:127]
	v_fma_f64 v[126:127], v[140:141], s[18:19], v[126:127]
	;; [unrolled: 1-line block ×4, first 2 shown]
	v_add_f64 v[130:131], v[130:131], v[167:168]
	v_add_f64 v[126:127], v[126:127], v[165:166]
	v_mul_f64 v[165:166], v[205:206], s[12:13]
	v_add_f64 v[154:155], v[148:149], v[193:194]
	v_add_f64 v[148:149], v[144:145], v[191:192]
	v_fma_f64 v[144:145], v[203:204], s[12:13], v[142:143]
	v_add_f64 v[167:168], v[116:117], v[120:121]
	v_fma_f64 v[142:143], v[203:204], s[12:13], -v[142:143]
	v_add_f64 v[146:147], v[144:145], v[195:196]
	v_fma_f64 v[144:145], v[140:141], s[14:15], v[165:166]
	v_fma_f64 v[140:141], v[140:141], s[34:35], v[165:166]
	v_add_f64 v[165:166], v[116:117], -v[120:121]
	v_mul_f64 v[116:117], v[171:172], s[26:27]
	v_add_f64 v[142:143], v[142:143], v[199:200]
	v_add_f64 v[144:145], v[144:145], v[197:198]
	;; [unrolled: 1-line block ×3, first 2 shown]
	v_fma_f64 v[118:119], v[167:168], s[28:29], v[116:117]
	v_fma_f64 v[116:117], v[167:168], s[28:29], -v[116:117]
	v_add_f64 v[120:121], v[118:119], v[163:164]
	v_mul_f64 v[118:119], v[169:170], s[28:29]
	v_add_f64 v[116:117], v[116:117], v[159:160]
	v_fma_f64 v[122:123], v[165:166], s[36:37], v[118:119]
	v_fma_f64 v[118:119], v[165:166], s[26:27], v[118:119]
	v_add_f64 v[122:123], v[122:123], v[157:158]
	v_mul_f64 v[157:158], v[171:172], s[30:31]
	v_add_f64 v[118:119], v[118:119], v[161:162]
	v_fma_f64 v[159:160], v[167:168], s[16:17], v[157:158]
	v_fma_f64 v[157:158], v[167:168], s[16:17], -v[157:158]
	v_add_f64 v[128:129], v[159:160], v[128:129]
	v_mul_f64 v[159:160], v[169:170], s[16:17]
	v_add_f64 v[124:125], v[157:158], v[124:125]
	v_fma_f64 v[157:158], v[165:166], s[30:31], v[159:160]
	v_fma_f64 v[161:162], v[165:166], s[20:21], v[159:160]
	v_add_f64 v[126:127], v[157:158], v[126:127]
	v_mul_f64 v[157:158], v[171:172], s[22:23]
	v_add_f64 v[130:131], v[161:162], v[130:131]
	;; [unrolled: 10-line block ×4, first 2 shown]
	v_mul_f64 v[161:162], v[169:170], s[6:7]
	v_fma_f64 v[148:149], v[167:168], s[6:7], v[150:151]
	v_add_f64 v[146:147], v[148:149], v[146:147]
	v_fma_f64 v[148:149], v[165:166], s[18:19], v[161:162]
	v_add_f64 v[148:149], v[148:149], v[144:145]
	v_fma_f64 v[144:145], v[167:168], s[6:7], -v[150:151]
	v_add_f64 v[142:143], v[144:145], v[142:143]
	v_fma_f64 v[144:145], v[165:166], s[2:3], v[161:162]
	v_add_f64 v[144:145], v[144:145], v[140:141]
	ds_write_b128 v176, v[112:115]
	ds_write_b128 v176, v[120:123] offset:16
	ds_write_b128 v176, v[128:131] offset:32
	;; [unrolled: 1-line block ×10, first 2 shown]
	s_waitcnt lgkmcnt(0)
	s_barrier
	buffer_gl0_inv
	ds_read_b128 v[112:115], v174
	ds_read_b128 v[136:139], v174 offset:1936
	ds_read_b128 v[120:123], v174 offset:352
	;; [unrolled: 1-line block ×9, first 2 shown]
	s_and_saveexec_b32 s0, vcc_lo
	s_cbranch_execz .LBB0_7
; %bb.6:
	ds_read_b128 v[116:119], v174 offset:1760
	ds_read_b128 v[100:103], v174 offset:3696
.LBB0_7:
	s_or_b32 exec_lo, exec_lo, s0
	s_waitcnt lgkmcnt(8)
	v_mul_f64 v[157:158], v[86:87], v[138:139]
	v_mul_f64 v[86:87], v[86:87], v[136:137]
	s_waitcnt lgkmcnt(6)
	v_mul_f64 v[159:160], v[82:83], v[142:143]
	v_mul_f64 v[82:83], v[82:83], v[140:141]
	s_waitcnt lgkmcnt(4)
	v_mul_f64 v[161:162], v[98:99], v[146:147]
	v_mul_f64 v[98:99], v[98:99], v[144:145]
	s_waitcnt lgkmcnt(2)
	v_mul_f64 v[163:164], v[90:91], v[150:151]
	v_mul_f64 v[90:91], v[90:91], v[148:149]
	s_waitcnt lgkmcnt(0)
	v_mul_f64 v[165:166], v[94:95], v[154:155]
	v_mul_f64 v[94:95], v[94:95], v[152:153]
	s_barrier
	buffer_gl0_inv
	v_fma_f64 v[136:137], v[84:85], v[136:137], v[157:158]
	v_fma_f64 v[84:85], v[84:85], v[138:139], -v[86:87]
	v_fma_f64 v[86:87], v[80:81], v[140:141], v[159:160]
	v_fma_f64 v[138:139], v[80:81], v[142:143], -v[82:83]
	;; [unrolled: 2-line block ×5, first 2 shown]
	v_add_f64 v[80:81], v[112:113], -v[136:137]
	v_add_f64 v[82:83], v[114:115], -v[84:85]
	;; [unrolled: 1-line block ×10, first 2 shown]
	v_fma_f64 v[112:113], v[112:113], 2.0, -v[80:81]
	v_fma_f64 v[114:115], v[114:115], 2.0, -v[82:83]
	;; [unrolled: 1-line block ×10, first 2 shown]
	ds_write_b128 v182, v[80:83] offset:176
	ds_write_b128 v182, v[112:115]
	ds_write_b128 v181, v[120:123]
	ds_write_b128 v181, v[84:87] offset:176
	ds_write_b128 v180, v[124:127]
	ds_write_b128 v180, v[88:91] offset:176
	;; [unrolled: 2-line block ×4, first 2 shown]
	s_and_saveexec_b32 s0, vcc_lo
	s_cbranch_execz .LBB0_9
; %bb.8:
	v_mul_f64 v[80:81], v[46:47], v[100:101]
	v_mul_f64 v[46:47], v[46:47], v[102:103]
	v_lshl_add_u32 v84, v177, 4, v175
	v_fma_f64 v[80:81], v[44:45], v[102:103], -v[80:81]
	v_fma_f64 v[44:45], v[44:45], v[100:101], v[46:47]
	v_add_f64 v[46:47], v[118:119], -v[80:81]
	v_add_f64 v[44:45], v[116:117], -v[44:45]
	v_fma_f64 v[82:83], v[118:119], 2.0, -v[46:47]
	v_fma_f64 v[80:81], v[116:117], 2.0, -v[44:45]
	ds_write_b128 v84, v[80:83] offset:3520
	ds_write_b128 v84, v[44:47] offset:3696
.LBB0_9:
	s_or_b32 exec_lo, exec_lo, s0
	s_waitcnt lgkmcnt(0)
	s_barrier
	buffer_gl0_inv
	ds_read_b128 v[80:83], v174 offset:352
	ds_read_b128 v[44:47], v174
	ds_read_b128 v[84:87], v174 offset:704
	ds_read_b128 v[88:91], v174 offset:1056
	;; [unrolled: 1-line block ×9, first 2 shown]
	s_mov_b32 s2, 0xf8bb580b
	s_mov_b32 s6, 0x8764f0ba
	;; [unrolled: 1-line block ×9, first 2 shown]
	s_waitcnt lgkmcnt(10)
	v_mul_f64 v[128:129], v[74:75], v[82:83]
	v_mul_f64 v[74:75], v[74:75], v[80:81]
	s_waitcnt lgkmcnt(8)
	v_mul_f64 v[132:133], v[58:59], v[86:87]
	v_mul_f64 v[58:59], v[58:59], v[84:85]
	;; [unrolled: 3-line block ×3, first 2 shown]
	s_mov_b32 s16, 0xd9c712b6
	s_waitcnt lgkmcnt(3)
	v_mul_f64 v[140:141], v[66:67], v[114:115]
	s_waitcnt lgkmcnt(2)
	v_mul_f64 v[134:135], v[70:71], v[118:119]
	v_mul_f64 v[70:71], v[70:71], v[116:117]
	s_waitcnt lgkmcnt(0)
	v_mul_f64 v[130:131], v[106:107], v[124:125]
	v_mul_f64 v[66:67], v[66:67], v[112:113]
	s_mov_b32 s26, 0x7f775887
	s_mov_b32 s28, 0xfd768dbf
	;; [unrolled: 1-line block ×10, first 2 shown]
	v_fma_f64 v[80:81], v[72:73], v[80:81], v[128:129]
	v_fma_f64 v[72:73], v[72:73], v[82:83], -v[74:75]
	v_mul_f64 v[74:75], v[106:107], v[126:127]
	v_mul_f64 v[82:83], v[110:111], v[122:123]
	;; [unrolled: 1-line block ×5, first 2 shown]
	v_fma_f64 v[84:85], v[56:57], v[84:85], v[132:133]
	v_fma_f64 v[56:57], v[56:57], v[86:87], -v[58:59]
	s_mov_b32 s25, 0x3fefac9e
	v_fma_f64 v[50:51], v[104:105], v[126:127], -v[130:131]
	v_mul_f64 v[126:127], v[78:79], v[98:99]
	v_mul_f64 v[78:79], v[78:79], v[96:97]
	;; [unrolled: 1-line block ×4, first 2 shown]
	s_mov_b32 s24, s18
	s_mov_b32 s36, s28
	;; [unrolled: 1-line block ×6, first 2 shown]
	v_add_f64 v[58:59], v[44:45], v[80:81]
	v_add_f64 v[86:87], v[46:47], v[72:73]
	v_fma_f64 v[54:55], v[104:105], v[124:125], v[74:75]
	v_fma_f64 v[74:75], v[108:109], v[120:121], v[82:83]
	v_fma_f64 v[82:83], v[108:109], v[122:123], -v[106:107]
	v_fma_f64 v[88:89], v[52:53], v[88:89], v[110:111]
	v_fma_f64 v[52:53], v[52:53], v[90:91], -v[128:129]
	;; [unrolled: 2-line block ×7, first 2 shown]
	v_add_f64 v[66:67], v[72:73], -v[50:51]
	v_add_f64 v[72:73], v[72:73], v[50:51]
	v_add_f64 v[58:59], v[58:59], v[84:85]
	;; [unrolled: 1-line block ×4, first 2 shown]
	v_add_f64 v[80:81], v[80:81], -v[54:55]
	v_add_f64 v[98:99], v[56:57], -v[82:83]
	v_add_f64 v[56:57], v[56:57], v[82:83]
	v_add_f64 v[96:97], v[84:85], v[74:75]
	;; [unrolled: 1-line block ×4, first 2 shown]
	v_add_f64 v[106:107], v[52:53], -v[68:69]
	v_add_f64 v[104:105], v[88:89], -v[90:91]
	;; [unrolled: 1-line block ×3, first 2 shown]
	v_add_f64 v[110:111], v[48:49], v[64:65]
	v_add_f64 v[112:113], v[48:49], -v[64:65]
	v_add_f64 v[108:109], v[70:71], v[92:93]
	v_mul_f64 v[114:115], v[66:67], s[2:3]
	v_mul_f64 v[116:117], v[72:73], s[6:7]
	;; [unrolled: 1-line block ×5, first 2 shown]
	v_add_f64 v[58:59], v[58:59], v[88:89]
	v_add_f64 v[52:53], v[86:87], v[52:53]
	v_mul_f64 v[86:87], v[66:67], s[18:19]
	v_mul_f64 v[88:89], v[72:73], s[20:21]
	;; [unrolled: 1-line block ×15, first 2 shown]
	v_fma_f64 v[157:158], v[62:63], s[6:7], v[114:115]
	v_fma_f64 v[159:160], v[80:81], s[0:1], v[116:117]
	v_mul_f64 v[142:143], v[106:107], s[18:19]
	v_mul_f64 v[144:145], v[102:103], s[20:21]
	v_fma_f64 v[114:115], v[62:63], s[6:7], -v[114:115]
	v_add_f64 v[58:59], v[58:59], v[70:71]
	v_add_f64 v[48:49], v[52:53], v[48:49]
	v_fma_f64 v[165:166], v[62:63], s[20:21], v[86:87]
	v_fma_f64 v[167:168], v[80:81], s[24:25], v[88:89]
	v_fma_f64 v[86:87], v[62:63], s[20:21], -v[86:87]
	v_fma_f64 v[88:89], v[80:81], s[18:19], v[88:89]
	v_fma_f64 v[116:117], v[80:81], s[2:3], v[116:117]
	;; [unrolled: 1-line block ×4, first 2 shown]
	v_fma_f64 v[118:119], v[62:63], s[16:17], -v[118:119]
	v_fma_f64 v[120:121], v[80:81], s[12:13], v[120:121]
	v_fma_f64 v[169:170], v[62:63], s[26:27], v[122:123]
	v_fma_f64 v[171:172], v[80:81], s[30:31], v[124:125]
	v_fma_f64 v[122:123], v[62:63], s[26:27], -v[122:123]
	v_fma_f64 v[124:125], v[80:81], s[22:23], v[124:125]
	v_fma_f64 v[175:176], v[62:63], s[34:35], v[66:67]
	v_fma_f64 v[177:178], v[80:81], s[36:37], v[72:73]
	;; [unrolled: 4-line block ×3, first 2 shown]
	v_add_f64 v[157:158], v[44:45], v[157:158]
	v_add_f64 v[58:59], v[58:59], v[94:95]
	v_add_f64 v[48:49], v[48:49], v[76:77]
	v_add_f64 v[159:160], v[46:47], v[159:160]
	v_mul_f64 v[52:53], v[106:107], s[14:15]
	v_mul_f64 v[150:151], v[102:103], s[16:17]
	v_fma_f64 v[183:184], v[96:97], s[34:35], v[134:135]
	v_fma_f64 v[185:186], v[84:85], s[28:29], v[136:137]
	v_fma_f64 v[134:135], v[96:97], s[34:35], -v[134:135]
	v_fma_f64 v[136:137], v[84:85], s[36:37], v[136:137]
	v_add_f64 v[86:87], v[44:45], v[86:87]
	v_add_f64 v[88:89], v[46:47], v[88:89]
	v_mul_f64 v[152:153], v[106:107], s[2:3]
	v_fma_f64 v[126:127], v[96:97], s[16:17], -v[126:127]
	v_fma_f64 v[128:129], v[84:85], s[12:13], v[128:129]
	v_fma_f64 v[179:180], v[96:97], s[26:27], v[130:131]
	;; [unrolled: 1-line block ×3, first 2 shown]
	v_fma_f64 v[130:131], v[96:97], s[26:27], -v[130:131]
	v_fma_f64 v[132:133], v[84:85], s[22:23], v[132:133]
	v_fma_f64 v[187:188], v[96:97], s[20:21], v[138:139]
	;; [unrolled: 1-line block ×3, first 2 shown]
	v_fma_f64 v[138:139], v[96:97], s[20:21], -v[138:139]
	v_fma_f64 v[140:141], v[84:85], s[24:25], v[140:141]
	v_add_f64 v[58:59], v[58:59], v[78:79]
	v_add_f64 v[48:49], v[48:49], v[60:61]
	v_fma_f64 v[191:192], v[96:97], s[6:7], v[98:99]
	v_fma_f64 v[193:194], v[84:85], s[2:3], v[56:57]
	v_fma_f64 v[96:97], v[96:97], s[6:7], -v[98:99]
	v_fma_f64 v[56:57], v[84:85], s[0:1], v[56:57]
	v_fma_f64 v[84:85], v[100:101], s[20:21], v[142:143]
	;; [unrolled: 1-line block ×3, first 2 shown]
	v_add_f64 v[118:119], v[44:45], v[118:119]
	v_add_f64 v[120:121], v[46:47], v[120:121]
	;; [unrolled: 1-line block ×4, first 2 shown]
	v_mul_f64 v[146:147], v[106:107], s[36:37]
	v_mul_f64 v[148:149], v[102:103], s[34:35]
	;; [unrolled: 1-line block ×4, first 2 shown]
	v_fma_f64 v[199:200], v[100:101], s[16:17], v[52:53]
	v_fma_f64 v[201:202], v[104:105], s[12:13], v[150:151]
	v_fma_f64 v[52:53], v[100:101], s[16:17], -v[52:53]
	v_fma_f64 v[150:151], v[104:105], s[14:15], v[150:151]
	v_add_f64 v[86:87], v[134:135], v[86:87]
	v_add_f64 v[88:89], v[136:137], v[88:89]
	;; [unrolled: 1-line block ×18, first 2 shown]
	v_mul_f64 v[102:103], v[102:103], s[26:27]
	v_fma_f64 v[144:145], v[104:105], s[18:19], v[144:145]
	v_fma_f64 v[142:143], v[100:101], s[20:21], -v[142:143]
	v_fma_f64 v[195:196], v[100:101], s[34:35], v[146:147]
	v_fma_f64 v[197:198], v[104:105], s[28:29], v[148:149]
	v_fma_f64 v[146:147], v[100:101], s[34:35], -v[146:147]
	v_add_f64 v[58:59], v[58:59], v[90:91]
	v_add_f64 v[48:49], v[48:49], v[68:69]
	;; [unrolled: 1-line block ×10, first 2 shown]
	v_fma_f64 v[148:149], v[104:105], s[36:37], v[148:149]
	v_add_f64 v[122:123], v[138:139], v[122:123]
	v_add_f64 v[44:45], v[96:97], v[44:45]
	;; [unrolled: 1-line block ×5, first 2 shown]
	v_add_f64 v[66:67], v[70:71], -v[92:93]
	v_mul_f64 v[70:71], v[112:113], s[22:23]
	v_fma_f64 v[84:85], v[104:105], s[0:1], v[154:155]
	v_mul_f64 v[92:93], v[112:113], s[24:25]
	v_mul_f64 v[96:97], v[110:111], s[20:21]
	v_add_f64 v[124:125], v[140:141], v[124:125]
	v_add_f64 v[58:59], v[58:59], v[74:75]
	;; [unrolled: 1-line block ×3, first 2 shown]
	v_mul_f64 v[74:75], v[110:111], s[26:27]
	v_fma_f64 v[82:83], v[100:101], s[6:7], v[152:153]
	v_fma_f64 v[98:99], v[100:101], s[6:7], -v[152:153]
	v_fma_f64 v[132:133], v[104:105], s[2:3], v[154:155]
	v_add_f64 v[52:53], v[52:53], v[86:87]
	v_add_f64 v[86:87], v[150:151], v[88:89]
	v_fma_f64 v[88:89], v[100:101], s[26:27], -v[106:107]
	v_add_f64 v[116:117], v[183:184], v[163:164]
	v_fma_f64 v[134:135], v[100:101], s[26:27], v[106:107]
	v_mul_f64 v[106:107], v[112:113], s[2:3]
	v_add_f64 v[118:119], v[185:186], v[165:166]
	v_add_f64 v[68:69], v[144:145], v[68:69]
	v_fma_f64 v[136:137], v[104:105], s[30:31], v[102:103]
	v_fma_f64 v[100:101], v[104:105], s[22:23], v[102:103]
	v_add_f64 v[64:65], v[142:143], v[64:65]
	v_add_f64 v[72:73], v[195:196], v[72:73]
	;; [unrolled: 1-line block ×4, first 2 shown]
	v_fma_f64 v[102:103], v[108:109], s[26:27], v[70:71]
	v_add_f64 v[84:85], v[84:85], v[126:127]
	v_fma_f64 v[70:71], v[108:109], s[26:27], -v[70:71]
	v_fma_f64 v[126:127], v[108:109], s[20:21], v[92:93]
	v_fma_f64 v[104:105], v[66:67], s[30:31], v[74:75]
	v_add_f64 v[82:83], v[82:83], v[120:121]
	v_fma_f64 v[74:75], v[66:67], s[22:23], v[74:75]
	v_mul_f64 v[120:121], v[110:111], s[6:7]
	v_fma_f64 v[138:139], v[66:67], s[18:19], v[96:97]
	v_fma_f64 v[92:93], v[108:109], s[20:21], -v[92:93]
	v_add_f64 v[114:115], v[148:149], v[114:115]
	v_add_f64 v[98:99], v[98:99], v[122:123]
	v_fma_f64 v[96:97], v[66:67], s[24:25], v[96:97]
	v_add_f64 v[122:123], v[132:133], v[124:125]
	v_mul_f64 v[124:125], v[112:113], s[28:29]
	v_mul_f64 v[132:133], v[110:111], s[34:35]
	;; [unrolled: 1-line block ×4, first 2 shown]
	v_add_f64 v[44:45], v[88:89], v[44:45]
	v_add_f64 v[88:89], v[76:77], -v[60:61]
	v_add_f64 v[60:61], v[76:77], v[60:61]
	v_add_f64 v[128:129], v[191:192], v[171:172]
	;; [unrolled: 1-line block ×4, first 2 shown]
	v_fma_f64 v[76:77], v[108:109], s[6:7], v[106:107]
	v_add_f64 v[118:119], v[201:202], v[118:119]
	v_add_f64 v[46:47], v[100:101], v[46:47]
	;; [unrolled: 1-line block ×4, first 2 shown]
	v_fma_f64 v[68:69], v[66:67], s[0:1], v[120:121]
	v_fma_f64 v[74:75], v[108:109], s[6:7], -v[106:107]
	v_add_f64 v[70:71], v[126:127], v[72:73]
	v_add_f64 v[72:73], v[138:139], v[80:81]
	;; [unrolled: 1-line block ×3, first 2 shown]
	v_fma_f64 v[92:93], v[66:67], s[2:3], v[120:121]
	v_add_f64 v[56:57], v[102:103], v[56:57]
	v_add_f64 v[62:63], v[104:105], v[62:63]
	;; [unrolled: 1-line block ×3, first 2 shown]
	v_fma_f64 v[96:97], v[108:109], s[34:35], v[124:125]
	v_fma_f64 v[102:103], v[66:67], s[36:37], v[132:133]
	v_fma_f64 v[104:105], v[108:109], s[34:35], -v[124:125]
	v_fma_f64 v[106:107], v[66:67], s[28:29], v[132:133]
	v_fma_f64 v[114:115], v[108:109], s[16:17], v[112:113]
	;; [unrolled: 1-line block ×3, first 2 shown]
	v_fma_f64 v[108:109], v[108:109], s[16:17], -v[112:113]
	v_fma_f64 v[66:67], v[66:67], s[14:15], v[110:111]
	v_add_f64 v[110:111], v[94:95], v[78:79]
	v_add_f64 v[78:79], v[94:95], -v[78:79]
	v_mul_f64 v[94:95], v[88:89], s[28:29]
	v_mul_f64 v[112:113], v[60:61], s[34:35]
	v_add_f64 v[128:129], v[134:135], v[128:129]
	v_add_f64 v[130:131], v[136:137], v[130:131]
	v_add_f64 v[76:77], v[76:77], v[116:117]
	v_mul_f64 v[116:117], v[88:89], s[0:1]
	v_mul_f64 v[124:125], v[60:61], s[6:7]
	v_add_f64 v[68:69], v[68:69], v[118:119]
	v_mul_f64 v[118:119], v[88:89], s[22:23]
	v_mul_f64 v[126:127], v[60:61], s[26:27]
	v_add_f64 v[74:75], v[74:75], v[52:53]
	;; [unrolled: 3-line block ×4, first 2 shown]
	v_add_f64 v[88:89], v[104:105], v[98:99]
	v_add_f64 v[96:97], v[106:107], v[122:123]
	;; [unrolled: 1-line block ×5, first 2 shown]
	v_fma_f64 v[66:67], v[110:111], s[34:35], v[94:95]
	v_fma_f64 v[108:109], v[78:79], s[36:37], v[112:113]
	v_add_f64 v[98:99], v[114:115], v[128:129]
	v_add_f64 v[102:103], v[120:121], v[130:131]
	v_fma_f64 v[94:95], v[110:111], s[34:35], -v[94:95]
	v_fma_f64 v[114:115], v[110:111], s[6:7], v[116:117]
	v_fma_f64 v[120:121], v[78:79], s[2:3], v[124:125]
	v_fma_f64 v[116:117], v[110:111], s[6:7], -v[116:117]
	v_fma_f64 v[122:123], v[110:111], s[26:27], v[118:119]
	v_fma_f64 v[128:129], v[78:79], s[30:31], v[126:127]
	;; [unrolled: 3-line block ×5, first 2 shown]
	v_fma_f64 v[126:127], v[78:79], s[22:23], v[126:127]
	v_fma_f64 v[124:125], v[78:79], s[0:1], v[124:125]
	;; [unrolled: 1-line block ×3, first 2 shown]
	v_add_f64 v[44:45], v[58:59], v[54:55]
	v_add_f64 v[46:47], v[48:49], v[50:51]
	;; [unrolled: 1-line block ×22, first 2 shown]
	ds_write_b128 v174, v[44:47]
	ds_write_b128 v174, v[48:51] offset:352
	ds_write_b128 v174, v[56:59] offset:704
	;; [unrolled: 1-line block ×10, first 2 shown]
	s_waitcnt lgkmcnt(0)
	s_barrier
	buffer_gl0_inv
	ds_read_b128 v[44:47], v174
	ds_read_b128 v[48:51], v174 offset:352
	v_mad_u64_u32 v[56:57], null, s10, v156, 0
	v_mad_u64_u32 v[58:59], null, s8, v173, 0
	s_mov_b32 s0, 0x6be69c90
	s_mov_b32 s1, 0x3f70ecf5
	s_mul_i32 s2, s9, 0x160
	s_mul_hi_u32 s3, s8, 0x160
	s_add_i32 s3, s3, s2
	s_mul_i32 s2, s8, 0x160
	s_waitcnt lgkmcnt(1)
	v_mul_f64 v[52:53], v[34:35], v[46:47]
	v_mul_f64 v[34:35], v[34:35], v[44:45]
	s_waitcnt lgkmcnt(0)
	v_mul_f64 v[60:61], v[6:7], v[50:51]
	v_mul_f64 v[6:7], v[6:7], v[48:49]
	v_fma_f64 v[44:45], v[32:33], v[44:45], v[52:53]
	v_fma_f64 v[46:47], v[32:33], v[46:47], -v[34:35]
	ds_read_b128 v[32:35], v174 offset:704
	v_mov_b32_e32 v52, v57
	v_fma_f64 v[6:7], v[4:5], v[50:51], -v[6:7]
	v_fma_f64 v[48:49], v[4:5], v[48:49], v[60:61]
	v_mad_u64_u32 v[52:53], null, s11, v156, v[52:53]
	v_mov_b32_e32 v53, v59
	v_mad_u64_u32 v[62:63], null, s9, v173, v[53:54]
	v_mov_b32_e32 v57, v52
	ds_read_b128 v[52:55], v174 offset:1056
	s_waitcnt lgkmcnt(1)
	v_mul_f64 v[63:64], v[2:3], v[34:35]
	v_mul_f64 v[65:66], v[2:3], v[32:33]
	v_lshlrev_b64 v[2:3], 4, v[56:57]
	v_mul_f64 v[44:45], v[44:45], s[0:1]
	v_mul_f64 v[46:47], v[46:47], s[0:1]
	v_mov_b32_e32 v59, v62
	v_add_co_u32 v50, vcc_lo, s4, v2
	v_add_co_ci_u32_e32 v51, vcc_lo, s5, v3, vcc_lo
	ds_read_b128 v[2:5], v174 offset:1408
	v_lshlrev_b64 v[56:57], 4, v[58:59]
	s_waitcnt lgkmcnt(1)
	v_mul_f64 v[76:77], v[26:27], v[54:55]
	v_mul_f64 v[26:27], v[26:27], v[52:53]
	v_add_co_u32 v67, vcc_lo, v50, v56
	v_add_co_ci_u32_e32 v68, vcc_lo, v51, v57, vcc_lo
	v_fma_f64 v[69:70], v[0:1], v[32:33], v[63:64]
	v_fma_f64 v[0:1], v[0:1], v[34:35], -v[65:66]
	v_mul_f64 v[34:35], v[6:7], s[0:1]
	global_store_dwordx4 v[67:68], v[44:47], off
	ds_read_b128 v[44:47], v174 offset:1760
	v_mul_f64 v[32:33], v[48:49], s[0:1]
	ds_read_b128 v[48:51], v174 offset:2112
	ds_read_b128 v[56:59], v174 offset:2464
	;; [unrolled: 1-line block ×3, first 2 shown]
	v_add_co_u32 v78, vcc_lo, v67, s2
	s_waitcnt lgkmcnt(4)
	v_mul_f64 v[6:7], v[22:23], v[4:5]
	v_mul_f64 v[22:23], v[22:23], v[2:3]
	ds_read_b128 v[64:67], v174 offset:3168
	ds_read_b128 v[72:75], v174 offset:3520
	v_add_co_ci_u32_e32 v79, vcc_lo, s3, v68, vcc_lo
	v_mul_f64 v[68:69], v[69:70], s[0:1]
	v_mul_f64 v[70:71], v[0:1], s[0:1]
	v_fma_f64 v[0:1], v[24:25], v[52:53], v[76:77]
	v_fma_f64 v[24:25], v[24:25], v[54:55], -v[26:27]
	s_waitcnt lgkmcnt(5)
	v_mul_f64 v[26:27], v[14:15], v[46:47]
	v_mul_f64 v[14:15], v[14:15], v[44:45]
	s_waitcnt lgkmcnt(4)
	v_mul_f64 v[54:55], v[10:11], v[50:51]
	v_mul_f64 v[10:11], v[10:11], v[48:49]
	;; [unrolled: 3-line block ×3, first 2 shown]
	v_fma_f64 v[6:7], v[20:21], v[2:3], v[6:7]
	v_fma_f64 v[20:21], v[20:21], v[4:5], -v[22:23]
	v_mul_f64 v[22:23], v[18:19], v[58:59]
	v_mul_f64 v[18:19], v[18:19], v[56:57]
	s_waitcnt lgkmcnt(1)
	v_mul_f64 v[80:81], v[38:39], v[66:67]
	v_mul_f64 v[38:39], v[38:39], v[64:65]
	s_waitcnt lgkmcnt(0)
	v_mul_f64 v[82:83], v[42:43], v[74:75]
	v_mul_f64 v[42:43], v[42:43], v[72:73]
	v_add_co_u32 v52, vcc_lo, v78, s2
	v_add_co_ci_u32_e32 v53, vcc_lo, s3, v79, vcc_lo
	global_store_dwordx4 v[78:79], v[32:35], off
	global_store_dwordx4 v[52:53], v[68:71], off
	v_mul_f64 v[2:3], v[24:25], s[0:1]
	v_fma_f64 v[24:25], v[12:13], v[44:45], v[26:27]
	v_fma_f64 v[12:13], v[12:13], v[46:47], -v[14:15]
	v_fma_f64 v[14:15], v[8:9], v[48:49], v[54:55]
	v_fma_f64 v[26:27], v[8:9], v[50:51], -v[10:11]
	v_add_co_u32 v32, vcc_lo, v52, s2
	v_mul_f64 v[4:5], v[6:7], s[0:1]
	v_mul_f64 v[6:7], v[20:21], s[0:1]
	v_fma_f64 v[20:21], v[16:17], v[56:57], v[22:23]
	v_fma_f64 v[18:19], v[16:17], v[58:59], -v[18:19]
	v_fma_f64 v[22:23], v[28:29], v[60:61], v[76:77]
	v_fma_f64 v[28:29], v[28:29], v[62:63], -v[30:31]
	;; [unrolled: 2-line block ×4, first 2 shown]
	v_add_co_ci_u32_e32 v33, vcc_lo, s3, v53, vcc_lo
	v_mul_f64 v[0:1], v[0:1], s[0:1]
	v_add_co_u32 v40, vcc_lo, v32, s2
	v_add_co_ci_u32_e32 v41, vcc_lo, s3, v33, vcc_lo
	v_mul_f64 v[8:9], v[24:25], s[0:1]
	v_add_co_u32 v42, vcc_lo, v40, s2
	;; [unrolled: 3-line block ×3, first 2 shown]
	v_mul_f64 v[12:13], v[14:15], s[0:1]
	v_mul_f64 v[14:15], v[26:27], s[0:1]
	v_add_co_ci_u32_e32 v45, vcc_lo, s3, v43, vcc_lo
	v_mul_f64 v[16:17], v[20:21], s[0:1]
	v_mul_f64 v[18:19], v[18:19], s[0:1]
	;; [unrolled: 1-line block ×8, first 2 shown]
	v_add_co_u32 v34, vcc_lo, v44, s2
	v_add_co_ci_u32_e32 v35, vcc_lo, s3, v45, vcc_lo
	global_store_dwordx4 v[32:33], v[0:3], off
	v_add_co_u32 v0, vcc_lo, v34, s2
	v_add_co_ci_u32_e32 v1, vcc_lo, s3, v35, vcc_lo
	global_store_dwordx4 v[40:41], v[4:7], off
	;; [unrolled: 3-line block ×4, first 2 shown]
	global_store_dwordx4 v[34:35], v[16:19], off
	global_store_dwordx4 v[0:1], v[20:23], off
	;; [unrolled: 1-line block ×4, first 2 shown]
.LBB0_10:
	s_endpgm
	.section	.rodata,"a",@progbits
	.p2align	6, 0x0
	.amdhsa_kernel bluestein_single_back_len242_dim1_dp_op_CI_CI
		.amdhsa_group_segment_fixed_size 19360
		.amdhsa_private_segment_fixed_size 0
		.amdhsa_kernarg_size 104
		.amdhsa_user_sgpr_count 6
		.amdhsa_user_sgpr_private_segment_buffer 1
		.amdhsa_user_sgpr_dispatch_ptr 0
		.amdhsa_user_sgpr_queue_ptr 0
		.amdhsa_user_sgpr_kernarg_segment_ptr 1
		.amdhsa_user_sgpr_dispatch_id 0
		.amdhsa_user_sgpr_flat_scratch_init 0
		.amdhsa_user_sgpr_private_segment_size 0
		.amdhsa_wavefront_size32 1
		.amdhsa_uses_dynamic_stack 0
		.amdhsa_system_sgpr_private_segment_wavefront_offset 0
		.amdhsa_system_sgpr_workgroup_id_x 1
		.amdhsa_system_sgpr_workgroup_id_y 0
		.amdhsa_system_sgpr_workgroup_id_z 0
		.amdhsa_system_sgpr_workgroup_info 0
		.amdhsa_system_vgpr_workitem_id 0
		.amdhsa_next_free_vgpr 236
		.amdhsa_next_free_sgpr 38
		.amdhsa_reserve_vcc 1
		.amdhsa_reserve_flat_scratch 0
		.amdhsa_float_round_mode_32 0
		.amdhsa_float_round_mode_16_64 0
		.amdhsa_float_denorm_mode_32 3
		.amdhsa_float_denorm_mode_16_64 3
		.amdhsa_dx10_clamp 1
		.amdhsa_ieee_mode 1
		.amdhsa_fp16_overflow 0
		.amdhsa_workgroup_processor_mode 1
		.amdhsa_memory_ordered 1
		.amdhsa_forward_progress 0
		.amdhsa_shared_vgpr_count 0
		.amdhsa_exception_fp_ieee_invalid_op 0
		.amdhsa_exception_fp_denorm_src 0
		.amdhsa_exception_fp_ieee_div_zero 0
		.amdhsa_exception_fp_ieee_overflow 0
		.amdhsa_exception_fp_ieee_underflow 0
		.amdhsa_exception_fp_ieee_inexact 0
		.amdhsa_exception_int_div_zero 0
	.end_amdhsa_kernel
	.text
.Lfunc_end0:
	.size	bluestein_single_back_len242_dim1_dp_op_CI_CI, .Lfunc_end0-bluestein_single_back_len242_dim1_dp_op_CI_CI
                                        ; -- End function
	.section	.AMDGPU.csdata,"",@progbits
; Kernel info:
; codeLenInByte = 16472
; NumSgprs: 40
; NumVgprs: 236
; ScratchSize: 0
; MemoryBound: 0
; FloatMode: 240
; IeeeMode: 1
; LDSByteSize: 19360 bytes/workgroup (compile time only)
; SGPRBlocks: 4
; VGPRBlocks: 29
; NumSGPRsForWavesPerEU: 40
; NumVGPRsForWavesPerEU: 236
; Occupancy: 4
; WaveLimiterHint : 1
; COMPUTE_PGM_RSRC2:SCRATCH_EN: 0
; COMPUTE_PGM_RSRC2:USER_SGPR: 6
; COMPUTE_PGM_RSRC2:TRAP_HANDLER: 0
; COMPUTE_PGM_RSRC2:TGID_X_EN: 1
; COMPUTE_PGM_RSRC2:TGID_Y_EN: 0
; COMPUTE_PGM_RSRC2:TGID_Z_EN: 0
; COMPUTE_PGM_RSRC2:TIDIG_COMP_CNT: 0
	.text
	.p2alignl 6, 3214868480
	.fill 48, 4, 3214868480
	.type	__hip_cuid_e0e806e350836920,@object ; @__hip_cuid_e0e806e350836920
	.section	.bss,"aw",@nobits
	.globl	__hip_cuid_e0e806e350836920
__hip_cuid_e0e806e350836920:
	.byte	0                               ; 0x0
	.size	__hip_cuid_e0e806e350836920, 1

	.ident	"AMD clang version 19.0.0git (https://github.com/RadeonOpenCompute/llvm-project roc-6.4.0 25133 c7fe45cf4b819c5991fe208aaa96edf142730f1d)"
	.section	".note.GNU-stack","",@progbits
	.addrsig
	.addrsig_sym __hip_cuid_e0e806e350836920
	.amdgpu_metadata
---
amdhsa.kernels:
  - .args:
      - .actual_access:  read_only
        .address_space:  global
        .offset:         0
        .size:           8
        .value_kind:     global_buffer
      - .actual_access:  read_only
        .address_space:  global
        .offset:         8
        .size:           8
        .value_kind:     global_buffer
      - .actual_access:  read_only
        .address_space:  global
        .offset:         16
        .size:           8
        .value_kind:     global_buffer
      - .actual_access:  read_only
        .address_space:  global
        .offset:         24
        .size:           8
        .value_kind:     global_buffer
      - .actual_access:  read_only
        .address_space:  global
        .offset:         32
        .size:           8
        .value_kind:     global_buffer
      - .offset:         40
        .size:           8
        .value_kind:     by_value
      - .address_space:  global
        .offset:         48
        .size:           8
        .value_kind:     global_buffer
      - .address_space:  global
        .offset:         56
        .size:           8
        .value_kind:     global_buffer
      - .address_space:  global
        .offset:         64
        .size:           8
        .value_kind:     global_buffer
      - .address_space:  global
        .offset:         72
        .size:           8
        .value_kind:     global_buffer
      - .offset:         80
        .size:           4
        .value_kind:     by_value
      - .address_space:  global
        .offset:         88
        .size:           8
        .value_kind:     global_buffer
      - .address_space:  global
        .offset:         96
        .size:           8
        .value_kind:     global_buffer
    .group_segment_fixed_size: 19360
    .kernarg_segment_align: 8
    .kernarg_segment_size: 104
    .language:       OpenCL C
    .language_version:
      - 2
      - 0
    .max_flat_workgroup_size: 110
    .name:           bluestein_single_back_len242_dim1_dp_op_CI_CI
    .private_segment_fixed_size: 0
    .sgpr_count:     40
    .sgpr_spill_count: 0
    .symbol:         bluestein_single_back_len242_dim1_dp_op_CI_CI.kd
    .uniform_work_group_size: 1
    .uses_dynamic_stack: false
    .vgpr_count:     236
    .vgpr_spill_count: 0
    .wavefront_size: 32
    .workgroup_processor_mode: 1
amdhsa.target:   amdgcn-amd-amdhsa--gfx1030
amdhsa.version:
  - 1
  - 2
...

	.end_amdgpu_metadata
